;; amdgpu-corpus repo=ROCm/aiter kind=harvested arch=n/a opt=n/a

/root/src/amdgpu-assembly/repos/ROCm__aiter/hsa/gfx950/mla/mla_a8w8_qh16_qseqlen2_gqaratio16_ps_page.co:	file format elf64-amdgpu

Disassembly of section .text:

0000000000002300 <_ZN5aiter41mla_a8w8_qh16_qseqlen2_gqaratio16_ps_pageE>:
	s_and_b32 s1, s1, 0xffff                                   // 000000002300: 8601FF01 0000FFFF
	s_load_dwordx2 s[28:29], s[0:1], 0xe0                      // 000000002308: C0060700 000000E0
	v_lshrrev_b32_e32 v1, 10, v0                               // 000000002310: 2002008A
	v_lshrrev_b32_e32 v2, 10, v1                               // 000000002314: 2004028A
	v_and_b32_e32 v2, 0x3ff, v2                                // 000000002318: 260404FF 000003FF
	v_and_b32_e32 v1, 0x3ff, v1                                // 000000002320: 260202FF 000003FF
	v_and_b32_e32 v0, 0x3ff, v0                                // 000000002328: 260000FF 000003FF
	v_lshrrev_b32_e32 v3, 6, v0                                // 000000002330: 20060086
	v_and_b32_e32 v0, 63, v0                                   // 000000002334: 260000BF
	s_mov_b32 s2, s2                                           // 000000002338: BE820002
	s_mov_b32 s3, s3                                           // 00000000233C: BE830003
	s_mov_b32 s4, s4                                           // 000000002340: BE840004
	v_readfirstlane_b32 s7, v3                                 // 000000002344: 7E0E0503
	s_waitcnt lgkmcnt(0)                                       // 000000002348: BF8CC07F
	s_and_b32 s29, s29, 0xffff                                 // 00000000234C: 861DFF1D 0000FFFF
	s_load_dwordx2 s[32:33], s[28:29], 0x0                     // 000000002354: C006080E 00000000
	s_load_dwordx2 s[30:31], s[28:29], 0x8                     // 00000000235C: C006078E 00000008
	s_waitcnt lgkmcnt(0)                                       // 000000002364: BF8CC07F
	s_mul_i32 s56, s2, 4                                       // 000000002368: 92388402
	s_and_b32 s33, s33, 0xffff                                 // 00000000236C: 8621FF21 0000FFFF
	s_add_u32 s32, s56, s32                                    // 000000002374: 80202038
	s_addc_u32 s33, 0, s33                                     // 000000002378: 82212180
	s_load_dword s85, s[32:33], 0x0                            // 00000000237C: C0021550 00000000
	s_load_dword s86, s[32:33], 0x4                            // 000000002384: C0021590 00000004
	s_and_b32 s31, s31, 0xffff                                 // 00000000238C: 861FFF1F 0000FFFF
	s_waitcnt lgkmcnt(0)                                       // 000000002394: BF8CC07F
	s_cmp_eq_i32 s85, s86                                      // 000000002398: BF005655
	s_cbranch_scc1 label_1F50                                  // 00000000239C: BF851EE5
	s_mul_i32 s56, s85, 32                                     // 0000000023A0: 9238A055

00000000000023a4 <label_0029>:
	s_waitcnt vmcnt(0) expcnt(0) lgkmcnt(0)                    // 0000000023A4: BF8C0000
	s_barrier                                                  // 0000000023A8: BF8A0000
	s_add_u32 s30, s56, s30                                    // 0000000023AC: 801E1E38
	s_addc_u32 s31, 0, s31                                     // 0000000023B0: 821F1F80
	s_load_dword s87, s[30:31], 0x4                            // 0000000023B4: C00215CF 00000004
	s_load_dword s78, s[30:31], 0x8                            // 0000000023BC: C002138F 00000008
	s_load_dword s79, s[30:31], 0xc                            // 0000000023C4: C00213CF 0000000C
	s_load_dword s46, s[30:31], 0x10                           // 0000000023CC: C0020B8F 00000010
	s_load_dword s47, s[30:31], 0x14                           // 0000000023D4: C0020BCF 00000014
	s_load_dword s77, s[30:31], 0x18                           // 0000000023DC: C002134F 00000018
	s_load_dwordx2 s[8:9], s[0:1], 0x0                         // 0000000023E4: C0060200 00000000
	s_load_dwordx2 s[12:13], s[0:1], 0x10                      // 0000000023EC: C0060300 00000010
	s_load_dwordx2 s[16:17], s[0:1], 0x20                      // 0000000023F4: C0060400 00000020
	s_load_dwordx2 s[20:21], s[0:1], 0x30                      // 0000000023FC: C0060500 00000030
	s_load_dwordx2 s[24:25], s[0:1], 0x50                      // 000000002404: C0060600 00000050
	s_load_dword s64, s[0:1], 0x70                             // 00000000240C: C0021000 00000070
	s_load_dword s65, s[0:1], 0x80                             // 000000002414: C0021040 00000080
	s_load_dword s67, s[0:1], 0x90                             // 00000000241C: C00210C0 00000090
	s_load_dword s66, s[0:1], 0xa0                             // 000000002424: C0021080 000000A0
	s_load_dword s68, s[0:1], 0xb0                             // 00000000242C: C0021100 000000B0
	s_load_dword s69, s[0:1], 0xc0                             // 000000002434: C0021140 000000C0
	s_load_dwordx2 s[88:89], s[0:1], 0xf0                      // 00000000243C: C0061600 000000F0
	s_load_dwordx2 s[38:39], s[0:1], 0x100                     // 000000002444: C0060980 00000100
	s_load_dwordx2 s[40:41], s[0:1], 0x110                     // 00000000244C: C0060A00 00000110
	s_waitcnt lgkmcnt(0)                                       // 000000002454: BF8CC07F
	s_min_u32 s76, 16, s65                                     // 000000002458: 83CC4190
	s_mul_i32 s74, 0x240, s65                                  // 00000000245C: 924A41FF 00000240
	s_mul_i32 s56, 4, s65                                      // 000000002464: 92384184
	s_mov_b32 s18, s74                                         // 000000002468: BE92004A
	s_mov_b32 s14, s56                                         // 00000000246C: BE8E0038
	s_mov_b32 s22, -16                                         // 000000002470: BE9600D0
	s_mov_b32 s26, -16                                         // 000000002474: BE9A00D0
	s_mov_b32 s11, 0x20000                                     // 000000002478: BE8B00FF 00020000
	s_mov_b32 s91, 0x20000                                     // 000000002480: BEDB00FF 00020000
	s_mov_b32 s19, 0x20000                                     // 000000002488: BE9300FF 00020000
	s_mov_b32 s15, 0x20000                                     // 000000002490: BE8F00FF 00020000
	s_mov_b32 s23, 0x20000                                     // 000000002498: BE9700FF 00020000
	s_mov_b32 s27, 0x20000                                     // 0000000024A0: BE9B00FF 00020000
	s_and_b32 s9, s9, 0xffff                                   // 0000000024A8: 8609FF09 0000FFFF
	s_and_b32 s89, s89, 0xffff                                 // 0000000024B0: 8659FF59 0000FFFF
	s_and_b32 s17, s17, 0xffff                                 // 0000000024B8: 8611FF11 0000FFFF
	s_and_b32 s13, s13, 0xffff                                 // 0000000024C0: 860DFF0D 0000FFFF
	s_and_b32 s21, s21, 0xffff                                 // 0000000024C8: 8615FF15 0000FFFF
	s_and_b32 s25, s25, 0xffff                                 // 0000000024D0: 8619FF19 0000FFFF
	s_and_b32 s39, s39, 0xffff                                 // 0000000024D8: 8627FF27 0000FFFF
	s_and_b32 s41, s41, 0xffff                                 // 0000000024E0: 8629FF29 0000FFFF
	s_or_b32 s9, s9, 0x40000                                   // 0000000024E8: 8709FF09 00040000
	s_or_b32 s89, s89, 0x40000                                 // 0000000024F0: 8759FF59 00040000
	s_or_b32 s17, s17, 0x40000                                 // 0000000024F8: 8711FF11 00040000
	s_or_b32 s13, s13, 0x40000                                 // 000000002500: 870DFF0D 00040000
	s_or_b32 s21, s21, 0x40000                                 // 000000002508: 8715FF15 00040000
	s_or_b32 s25, s25, 0x40000                                 // 000000002510: 8719FF19 00040000
	s_mov_b32 s81, 2                                           // 000000002518: BED10082
	s_mov_b32 s67, 1                                           // 00000000251C: BEC30081
	s_mov_b32 s80, 0                                           // 000000002520: BED00080
	s_waitcnt lgkmcnt(0)                                       // 000000002524: BF8CC07F
	s_load_dword s42, s[38:39], 0x0                            // 000000002528: C0020A93 00000000
	s_load_dword s43, s[40:41], 0x0                            // 000000002530: C0020AD4 00000000
	s_lshr_b32 s44, 64, s69                                    // 000000002538: 8F2C45C0
	s_mul_i32 s73, s44, 4                                      // 00000000253C: 9249842C
	s_mul_i32 s73, s73, s67                                    // 000000002540: 92494349
	s_mul_i32 s45, s4, s44                                     // 000000002544: 922D2C04
	s_sub_u32 s72, s47, s46                                    // 000000002548: 80C82E2F
	s_lshr_b32 s62, s46, s69                                   // 00000000254C: 8F3E452E
	s_bfm_b32 s56, s69, 0                                      // 000000002550: 91388045
	s_add_u32 s56, s56, s72                                    // 000000002554: 80384838
	s_lshr_b32 s50, s56, s69                                   // 000000002558: 8F324538
	s_mov_b32 s56, s72                                         // 00000000255C: BEB80048
	s_sub_u32 s82, s56, s81                                    // 000000002560: 80D25138
	s_mov_b32 s58, s77                                         // 000000002564: BEBA004D
	s_add_u32 s82, s82, s58                                    // 000000002568: 80523A52
	s_add_u32 s57, s82, 8                                      // 00000000256C: 80398852
	s_min_u32 s56, s56, s57                                    // 000000002570: 83B83938
	s_lshl_b32 s56, s45, s69                                   // 000000002574: 8E38452D
	s_add_u32 s83, s56, 63                                     // 000000002578: 8053BF38
	s_mul_i32 s84, s67, 64                                     // 00000000257C: 9254C043
	s_mul_i32 s58, 4, 16                                       // 000000002580: 923A9084
	s_mul_i32 s56, s87, s58                                    // 000000002584: 92383A57
	s_add_u32 s12, s56, s12                                    // 000000002588: 800C0C38
	s_addc_u32 s13, 0, s13                                     // 00000000258C: 820D0D80
	s_mul_i32 s56, s58, s81                                    // 000000002590: 9238513A
	s_mov_b32 s14, s56                                         // 000000002594: BE8E0038
	v_and_b32_e32 v18, 15, v0                                  // 000000002598: 2624008F
	v_lshlrev_b32_e32 v18, 2, v18                              // 00000000259C: 24242482
	s_cmp_le_u32 s50, s45                                      // 0000000025A0: BF0B2D32
	s_cbranch_scc1 label_1F50                                  // 0000000025A4: BF851E63
	s_mul_i32 s56, s50, 4                                      // 0000000025A8: 92388432
	s_mov_b32 s26, s56                                         // 0000000025AC: BE9A0038
	s_mul_i32 s56, s62, 4                                      // 0000000025B0: 9238843E
	s_add_u32 s24, s56, s24                                    // 0000000025B4: 80181838
	s_addc_u32 s25, 0, s25                                     // 0000000025B8: 82191980
	s_mov_b32 s70, 0                                           // 0000000025BC: BEC60080
	s_lshr_b32 s71, s72, 6                                     // 0000000025C0: 8F478648
	s_and_b32 s48, s72, 63                                     // 0000000025C4: 8630BF48
	v_lshrrev_b32_e32 v34, 3, v0                               // 0000000025C8: 20440083
	v_and_b32_e32 v35, 1, v34                                  // 0000000025CC: 26464481
	v_lshlrev_b32_e32 v28, 5, v35                              // 0000000025D0: 24384685
	v_lshrrev_b32_e32 v34, 1, v34                              // 0000000025D4: 20444481
	v_lshlrev_b32_e32 v34, 3, v34                              // 0000000025D8: 24444483
	v_add_u32_e32 v28, v28, v34                                // 0000000025DC: 6838451C
	v_and_b32_e32 v34, 7, v0                                   // 0000000025E0: 26440087
	v_add_u32_e32 v28, v28, v34                                // 0000000025E4: 6838451C
	v_lshrrev_b32_e32 v34, s69, v28                            // 0000000025E8: 20443845
	v_bfm_b32 v35, s69, 0                                      // 0000000025EC: D2930023 00010045
	v_and_b32_e32 v29, v35, v28                                // 0000000025F4: 263A3923
	v_add_u32_e32 v34, s45, v34                                // 0000000025F8: 6844442D
	v_lshlrev_b32_e32 v28, 2, v34                              // 0000000025FC: 24384482
	v_mul_i32_i24_e32 v29, 0x240, v29                          // 000000002600: 0C3A3AFF 00000240
	buffer_load_dword v26, v28, s[24:27], 0 offen              // 000000002608: E0501000 80061A1C
	v_add_u32_e32 v28, s73, v28                                // 000000002610: 68383849
	buffer_load_dword v27, v28, s[24:27], 0 offen              // 000000002614: E0501000 80061B1C
	v_add_u32_e32 v28, s73, v28                                // 00000000261C: 68383849
	s_mul_i32 s56, 0x240, 16                                   // 000000002620: 923890FF 00000240
	s_mul_i32 s56, s78, s56                                    // 000000002628: 9238384E
	s_add_u32 s16, s56, s16                                    // 00000000262C: 80101038
	s_addc_u32 s17, 0, s17                                     // 000000002630: 82111180
	s_mul_i32 s56, s7, 0xc20                                   // 000000002634: 9238FF07 00000C20
	s_add_u32 m0, 0, s56                                       // 00000000263C: 807C3880
	s_mul_i32 s56, s7, 0x240                                   // 000000002640: 9238FF07 00000240
	v_lshlrev_b32_e32 v34, 2, v0                               // 000000002648: 24440082
	v_add_u32_e64 v34, v34, s56                                // 00000000264C: D1340022 00007122
	buffer_load_dword v34, s[16:19], 0 offen lds               // 000000002654: E0511000 80040022
	buffer_load_dword v34, s[16:19], 0 offen offset:256 lds    // 00000000265C: E0511100 80040022
	buffer_load_dword v34, s[16:19], 0 offen offset:512 lds    // 000000002664: E0511200 80040022
	s_add_u32 m0, m0, 0x300                                    // 00000000266C: 807CFF7C 00000300
	v_add_u32_e32 v34, 0x900, v34                              // 000000002674: 684444FF 00000900
	buffer_load_dword v34, s[16:19], 0 offen lds               // 00000000267C: E0511000 80040022
	buffer_load_dword v34, s[16:19], 0 offen offset:256 lds    // 000000002684: E0511100 80040022
	buffer_load_dword v34, s[16:19], 0 offen offset:512 lds    // 00000000268C: E0511200 80040022
	s_add_u32 m0, m0, 0x300                                    // 000000002694: 807CFF7C 00000300
	v_add_u32_e32 v34, 0x900, v34                              // 00000000269C: 684444FF 00000900
	buffer_load_dword v34, s[16:19], 0 offen lds               // 0000000026A4: E0511000 80040022
	buffer_load_dword v34, s[16:19], 0 offen offset:256 lds    // 0000000026AC: E0511100 80040022
	buffer_load_dword v34, s[16:19], 0 offen offset:512 lds    // 0000000026B4: E0511200 80040022
	s_add_u32 m0, m0, 0x300                                    // 0000000026BC: 807CFF7C 00000300
	v_add_u32_e32 v34, 0x900, v34                              // 0000000026C4: 684444FF 00000900
	buffer_load_dword v34, s[16:19], 0 offen lds               // 0000000026CC: E0511000 80040022
	buffer_load_dword v34, s[16:19], 0 offen offset:256 lds    // 0000000026D4: E0511100 80040022
	buffer_load_dword v34, s[16:19], 0 offen offset:512 lds    // 0000000026DC: E0511200 80040022
	s_add_u32 m0, m0, 0x300                                    // 0000000026E4: 807CFF7C 00000300
	v_add_u32_e32 v34, 0x900, v34                              // 0000000026EC: 684444FF 00000900
	s_add_u32 m0, m0, 0x2400                                   // 0000000026F4: 807CFF7C 00002400
	buffer_load_dword v34, s[16:19], 0 offen lds               // 0000000026FC: E0511000 80040022
	buffer_load_dword v34, s[16:19], 0 offen offset:256 lds    // 000000002704: E0511100 80040022
	buffer_load_dword v34, s[16:19], 0 offen offset:512 lds    // 00000000270C: E0511200 80040022
	s_add_u32 m0, m0, 0x300                                    // 000000002714: 807CFF7C 00000300
	v_add_u32_e32 v34, 0x900, v34                              // 00000000271C: 684444FF 00000900
	buffer_load_dword v34, s[16:19], 0 offen lds               // 000000002724: E0511000 80040022
	buffer_load_dword v34, s[16:19], 0 offen offset:256 lds    // 00000000272C: E0511100 80040022
	buffer_load_dword v34, s[16:19], 0 offen offset:512 lds    // 000000002734: E0511200 80040022
	s_add_u32 m0, m0, 0x300                                    // 00000000273C: 807CFF7C 00000300
	v_add_u32_e32 v34, 0x900, v34                              // 000000002744: 684444FF 00000900
	buffer_load_dword v34, s[16:19], 0 offen lds               // 00000000274C: E0511000 80040022
	buffer_load_dword v34, s[16:19], 0 offen offset:256 lds    // 000000002754: E0511100 80040022
	buffer_load_dword v34, s[16:19], 0 offen offset:512 lds    // 00000000275C: E0511200 80040022
	s_add_u32 m0, m0, 0x300                                    // 000000002764: 807CFF7C 00000300
	v_add_u32_e32 v34, 0x900, v34                              // 00000000276C: 684444FF 00000900
	buffer_load_dword v34, s[16:19], 0 offen lds               // 000000002774: E0511000 80040022
	buffer_load_dword v34, s[16:19], 0 offen offset:256 lds    // 00000000277C: E0511100 80040022
	buffer_load_dword v34, s[16:19], 0 offen offset:512 lds    // 000000002784: E0511200 80040022
	s_add_u32 m0, m0, 0x300                                    // 00000000278C: 807CFF7C 00000300
	v_add_u32_e32 v34, 0x900, v34                              // 000000002794: 684444FF 00000900
	s_add_u32 m0, m0, 0x2400                                   // 00000000279C: 807CFF7C 00002400
	v_mov_b32_e32 v10, s68                                     // 0000000027A4: 7E140244
	s_mov_b32 s52, 0x7060302                                   // 0000000027A8: BEB400FF 07060302
	s_mov_b32 s53, 0x5040100                                   // 0000000027B0: BEB500FF 05040100
	s_mov_b32 s54, 0x5010400                                   // 0000000027B8: BEB600FF 05010400
	s_mov_b32 s55, 0x7030602                                   // 0000000027C0: BEB700FF 07030602
	s_mul_i32 s51, s7, 4                                       // 0000000027C8: 92338407
	s_mov_b32 s6, 0x3fb8aa3b                                   // 0000000027CC: BE8600FF 3FB8AA3B
	v_mov_b32_e32 v35, s6                                      // 0000000027D4: 7E460206
	v_mov_b32_e32 v34, s64                                     // 0000000027D8: 7E440240
	v_mul_f32_e32 v34, s6, v34                                 // 0000000027DC: 0A444406
	v_rcp_f32_e32 v35, v35                                     // 0000000027E0: 7E464523
	v_mov_b32_e32 v12, 0xff800000                              // 0000000027E4: 7E1802FF FF800000
	v_mov_b32_e32 v13, 0xff800000                              // 0000000027EC: 7E1A02FF FF800000
	v_mov_b32_e32 v11, 0xff800000                              // 0000000027F4: 7E1602FF FF800000
	v_mov_b32_e32 v20, 0                                       // 0000000027FC: 7E280280
	v_mov_b32_e32 v21, 0                                       // 000000002800: 7E2A0280
	v_mov_b32_e32 v15, 0                                       // 000000002804: 7E1E0280
	v_mov_b32_e32 v16, 0                                       // 000000002808: 7E200280
	v_mov_b32_e32 v31, 0xffff0000                              // 00000000280C: 7E3E02FF FFFF0000
	v_mov_b32_e32 v32, 0x7fff0000                              // 000000002814: 7E4002FF 7FFF0000
	v_mov_b32_e32 v33, 0x7fff                                  // 00000000281C: 7E4202FF 00007FFF
	v_readfirstlane_b32 s5, v34                                // 000000002824: 7E0A0522
	v_readfirstlane_b32 s63, v35                               // 000000002828: 7E7E0523
	s_waitcnt lgkmcnt(0)                                       // 00000000282C: BF8CC07F
	v_mov_b32_e32 v34, s42                                     // 000000002830: 7E44022A
	v_mul_f32_e32 v34, s43, v34                                // 000000002834: 0A44442B
	v_mul_f32_e32 v35, s5, v34                                 // 000000002838: 0A464405
	v_mul_f32_e32 v37, s64, v34                                // 00000000283C: 0A4A4440
	v_readfirstlane_b32 s5, v35                                // 000000002840: 7E0A0523
	v_readfirstlane_b32 s64, v37                               // 000000002844: 7E800525
	v_and_b32_e32 v4, 15, v0                                   // 000000002848: 2608008F
	v_lshlrev_b32_e32 v4, 2, v4                                // 00000000284C: 24080882
	v_lshlrev_b32_e32 v5, 2, v0                                // 000000002850: 240A0082
	s_mul_i32 s56, 0x100, s7                                   // 000000002854: 923807FF 00000100
	v_add_u32_e32 v5, s56, v5                                  // 00000000285C: 680A0A38
	v_and_b32_e32 v34, 15, v0                                  // 000000002860: 2644008F
	v_mul_i32_i24_e32 v34, 18, v34                             // 000000002864: 0C444492
	v_lshrrev_b32_e32 v35, 4, v0                               // 000000002868: 20460084
	v_lshlrev_b32_e32 v35, 1, v35                              // 00000000286C: 24464681
	v_add_u32_e32 v6, v35, v34                                 // 000000002870: 680C4523
	v_lshlrev_b32_e32 v6, 2, v6                                // 000000002874: 240C0C82
	v_and_b32_e32 v34, 15, v0                                  // 000000002878: 2644008F
	v_mul_i32_i24_e32 v34, 18, v34                             // 00000000287C: 0C444492
	v_lshrrev_b32_e32 v35, 4, v0                               // 000000002880: 20460084
	s_mul_i32 s56, s7, 4                                       // 000000002884: 92388407
	v_add_u32_e32 v35, s56, v35                                // 000000002888: 68464638
	v_add_u32_e32 v7, v35, v34                                 // 00000000288C: 680E4523
	v_lshlrev_b32_e32 v7, 2, v7                                // 000000002890: 240E0E82
	v_and_b32_e32 v34, 15, v0                                  // 000000002894: 2644008F
	v_lshlrev_b32_e32 v2, 2, v34                               // 000000002898: 24044482
	v_lshlrev_b32_e32 v3, 2, v34                               // 00000000289C: 24064482
	s_mul_i32 s56, s7, 0x80                                    // 0000000028A0: 9238FF07 00000080
	v_add_u32_e32 v2, s56, v2                                  // 0000000028A8: 68040438
	s_mul_i32 s56, 4, 0x80                                     // 0000000028AC: 9238FF84 00000080
	v_add_u32_e32 v3, s56, v3                                  // 0000000028B4: 68060638
	s_waitcnt vmcnt(24)                                        // 0000000028B8: BF8C4F78
	v_mul_u32_u24_dpp v42, v26, v10 row_newbcast:0 row_mask:0xf bank_mask:0xf// 0000000028BC: 105414FA FF01501A
	v_mul_u32_u24_dpp v43, v26, v10 row_newbcast:1 row_mask:0xf bank_mask:0xf// 0000000028C4: 105614FA FF01511A
	v_mul_u32_u24_dpp v44, v26, v10 row_newbcast:2 row_mask:0xf bank_mask:0xf// 0000000028CC: 105814FA FF01521A
	v_mul_u32_u24_dpp v45, v26, v10 row_newbcast:3 row_mask:0xf bank_mask:0xf// 0000000028D4: 105A14FA FF01531A
	v_mul_u32_u24_dpp v46, v26, v10 row_newbcast:4 row_mask:0xf bank_mask:0xf// 0000000028DC: 105C14FA FF01541A
	v_mul_u32_u24_dpp v47, v26, v10 row_newbcast:5 row_mask:0xf bank_mask:0xf// 0000000028E4: 105E14FA FF01551A
	v_mul_u32_u24_dpp v48, v26, v10 row_newbcast:6 row_mask:0xf bank_mask:0xf// 0000000028EC: 106014FA FF01561A
	v_mul_u32_u24_dpp v49, v26, v10 row_newbcast:7 row_mask:0xf bank_mask:0xf// 0000000028F4: 106214FA FF01571A
	v_mul_u32_u24_dpp v50, v26, v10 row_newbcast:8 row_mask:0xf bank_mask:0xf// 0000000028FC: 106414FA FF01581A
	v_mul_u32_u24_dpp v51, v26, v10 row_newbcast:9 row_mask:0xf bank_mask:0xf// 000000002904: 106614FA FF01591A
	v_mul_u32_u24_dpp v52, v26, v10 row_newbcast:10 row_mask:0xf bank_mask:0xf// 00000000290C: 106814FA FF015A1A
	v_mul_u32_u24_dpp v53, v26, v10 row_newbcast:11 row_mask:0xf bank_mask:0xf// 000000002914: 106A14FA FF015B1A
	v_mul_u32_u24_dpp v54, v26, v10 row_newbcast:12 row_mask:0xf bank_mask:0xf// 00000000291C: 106C14FA FF015C1A
	v_mul_u32_u24_dpp v55, v26, v10 row_newbcast:13 row_mask:0xf bank_mask:0xf// 000000002924: 106E14FA FF015D1A
	v_mul_u32_u24_dpp v56, v26, v10 row_newbcast:14 row_mask:0xf bank_mask:0xf// 00000000292C: 107014FA FF015E1A
	v_mul_u32_u24_dpp v57, v26, v10 row_newbcast:15 row_mask:0xf bank_mask:0xf// 000000002934: 107214FA FF015F1A
	v_add_u32_dpp v42, v29, v42 row_newbcast:0 row_mask:0xf bank_mask:0xf// 00000000293C: 685454FA FF01501D
	v_add_u32_dpp v43, v29, v43 row_newbcast:1 row_mask:0xf bank_mask:0xf// 000000002944: 685656FA FF01511D
	v_add_u32_dpp v44, v29, v44 row_newbcast:2 row_mask:0xf bank_mask:0xf// 00000000294C: 685858FA FF01521D
	v_add_u32_dpp v45, v29, v45 row_newbcast:3 row_mask:0xf bank_mask:0xf// 000000002954: 685A5AFA FF01531D
	v_add_u32_dpp v46, v29, v46 row_newbcast:4 row_mask:0xf bank_mask:0xf// 00000000295C: 685C5CFA FF01541D
	v_add_u32_dpp v47, v29, v47 row_newbcast:5 row_mask:0xf bank_mask:0xf// 000000002964: 685E5EFA FF01551D
	v_add_u32_dpp v48, v29, v48 row_newbcast:6 row_mask:0xf bank_mask:0xf// 00000000296C: 686060FA FF01561D
	v_add_u32_dpp v49, v29, v49 row_newbcast:7 row_mask:0xf bank_mask:0xf// 000000002974: 686262FA FF01571D
	v_add_u32_dpp v50, v29, v50 row_newbcast:8 row_mask:0xf bank_mask:0xf// 00000000297C: 686464FA FF01581D
	v_add_u32_dpp v51, v29, v51 row_newbcast:9 row_mask:0xf bank_mask:0xf// 000000002984: 686666FA FF01591D
	v_add_u32_dpp v52, v29, v52 row_newbcast:10 row_mask:0xf bank_mask:0xf// 00000000298C: 686868FA FF015A1D
	v_add_u32_dpp v53, v29, v53 row_newbcast:11 row_mask:0xf bank_mask:0xf// 000000002994: 686A6AFA FF015B1D
	v_add_u32_dpp v54, v29, v54 row_newbcast:12 row_mask:0xf bank_mask:0xf// 00000000299C: 686C6CFA FF015C1D
	v_add_u32_dpp v55, v29, v55 row_newbcast:13 row_mask:0xf bank_mask:0xf// 0000000029A4: 686E6EFA FF015D1D
	v_add_u32_dpp v56, v29, v56 row_newbcast:14 row_mask:0xf bank_mask:0xf// 0000000029AC: 687070FA FF015E1D
	v_add_u32_dpp v57, v29, v57 row_newbcast:15 row_mask:0xf bank_mask:0xf// 0000000029B4: 687272FA FF015F1D
	s_mov_b32 s56, m0                                          // 0000000029BC: BEB8007C
	s_set_gpr_idx_on s51, gpr_idx(SRC0)                        // 0000000029C0: BF110133
	v_add_u32_e32 v38, v42, v3                                 // 0000000029C4: 684C072A
	v_add_u32_e32 v39, v43, v3                                 // 0000000029C8: 684E072B
	v_add_u32_e32 v40, v44, v3                                 // 0000000029CC: 6850072C
	v_add_u32_e32 v41, v45, v3                                 // 0000000029D0: 6852072D
	s_set_gpr_idx_off                                          // 0000000029D4: BF9C0000
	s_mov_b32 m0, s56                                          // 0000000029D8: BEFC0038
	v_add_u32_e32 v42, v42, v2                                 // 0000000029DC: 6854052A
	v_add_u32_e32 v43, v43, v2                                 // 0000000029E0: 6856052B
	v_add_u32_e32 v44, v44, v2                                 // 0000000029E4: 6858052C
	v_add_u32_e32 v45, v45, v2                                 // 0000000029E8: 685A052D
	v_add_u32_e32 v46, v46, v2                                 // 0000000029EC: 685C052E
	v_add_u32_e32 v47, v47, v2                                 // 0000000029F0: 685E052F
	v_add_u32_e32 v48, v48, v2                                 // 0000000029F4: 68600530
	v_add_u32_e32 v49, v49, v2                                 // 0000000029F8: 68620531
	v_add_u32_e32 v50, v50, v2                                 // 0000000029FC: 68640532
	v_add_u32_e32 v51, v51, v2                                 // 000000002A00: 68660533
	v_add_u32_e32 v52, v52, v2                                 // 000000002A04: 68680534
	v_add_u32_e32 v53, v53, v2                                 // 000000002A08: 686A0535
	v_add_u32_e32 v54, v54, v2                                 // 000000002A0C: 686C0536
	v_add_u32_e32 v55, v55, v2                                 // 000000002A10: 686E0537
	v_add_u32_e32 v56, v56, v2                                 // 000000002A14: 68700538
	v_add_u32_e32 v57, v57, v2                                 // 000000002A18: 68720539
	buffer_load_dword v154, v42, s[20:23], 0 offen             // 000000002A1C: E0501000 80059A2A
	buffer_load_dword v155, v42, s[20:23], 0 offen offset:64   // 000000002A24: E0501040 80059B2A
	buffer_load_dword v156, v43, s[20:23], 0 offen             // 000000002A2C: E0501000 80059C2B
	buffer_load_dword v157, v43, s[20:23], 0 offen offset:64   // 000000002A34: E0501040 80059D2B
	buffer_load_dword v158, v44, s[20:23], 0 offen             // 000000002A3C: E0501000 80059E2C
	buffer_load_dword v159, v44, s[20:23], 0 offen offset:64   // 000000002A44: E0501040 80059F2C
	buffer_load_dword v160, v45, s[20:23], 0 offen             // 000000002A4C: E0501000 8005A02D
	buffer_load_dword v161, v45, s[20:23], 0 offen offset:64   // 000000002A54: E0501040 8005A12D
	buffer_load_dword v162, v46, s[20:23], 0 offen             // 000000002A5C: E0501000 8005A22E
	buffer_load_dword v163, v46, s[20:23], 0 offen offset:64   // 000000002A64: E0501040 8005A32E
	buffer_load_dword v164, v47, s[20:23], 0 offen             // 000000002A6C: E0501000 8005A42F
	buffer_load_dword v165, v47, s[20:23], 0 offen offset:64   // 000000002A74: E0501040 8005A52F
	buffer_load_dword v166, v48, s[20:23], 0 offen             // 000000002A7C: E0501000 8005A630
	buffer_load_dword v167, v48, s[20:23], 0 offen offset:64   // 000000002A84: E0501040 8005A730
	buffer_load_dword v168, v49, s[20:23], 0 offen             // 000000002A8C: E0501000 8005A831
	buffer_load_dword v169, v49, s[20:23], 0 offen offset:64   // 000000002A94: E0501040 8005A931
	buffer_load_dword v170, v50, s[20:23], 0 offen             // 000000002A9C: E0501000 8005AA32
	buffer_load_dword v171, v50, s[20:23], 0 offen offset:64   // 000000002AA4: E0501040 8005AB32
	buffer_load_dword v172, v51, s[20:23], 0 offen             // 000000002AAC: E0501000 8005AC33
	buffer_load_dword v173, v51, s[20:23], 0 offen offset:64   // 000000002AB4: E0501040 8005AD33
	buffer_load_dword v174, v52, s[20:23], 0 offen             // 000000002ABC: E0501000 8005AE34
	buffer_load_dword v175, v52, s[20:23], 0 offen offset:64   // 000000002AC4: E0501040 8005AF34
	buffer_load_dword v176, v53, s[20:23], 0 offen             // 000000002ACC: E0501000 8005B035
	buffer_load_dword v177, v53, s[20:23], 0 offen offset:64   // 000000002AD4: E0501040 8005B135
	buffer_load_dword v178, v54, s[20:23], 0 offen             // 000000002ADC: E0501000 8005B236
	buffer_load_dword v179, v54, s[20:23], 0 offen offset:64   // 000000002AE4: E0501040 8005B336
	buffer_load_dword v180, v55, s[20:23], 0 offen             // 000000002AEC: E0501000 8005B437
	buffer_load_dword v181, v55, s[20:23], 0 offen offset:64   // 000000002AF4: E0501040 8005B537
	buffer_load_dword v182, v56, s[20:23], 0 offen             // 000000002AFC: E0501000 8005B638
	buffer_load_dword v183, v56, s[20:23], 0 offen offset:64   // 000000002B04: E0501040 8005B738
	buffer_load_dword v184, v57, s[20:23], 0 offen             // 000000002B0C: E0501000 8005B839
	buffer_load_dword v185, v57, s[20:23], 0 offen offset:64   // 000000002B14: E0501040 8005B939
	buffer_load_dword v74, v38, s[20:23], 0 offen              // 000000002B1C: E0501000 80054A26
	buffer_load_dword v75, v39, s[20:23], 0 offen              // 000000002B24: E0501000 80054B27
	buffer_load_dword v76, v40, s[20:23], 0 offen              // 000000002B2C: E0501000 80054C28
	buffer_load_dword v77, v41, s[20:23], 0 offen              // 000000002B34: E0501000 80054D29
	buffer_load_dword v26, v28, s[24:27], 0 offen              // 000000002B3C: E0501000 80061A1C
	v_add_u32_e32 v28, s73, v28                                // 000000002B44: 68383849
	v_lshrrev_b32_e32 v34, 4, v0                               // 000000002B48: 20440084
	v_lshlrev_b32_e32 v35, 2, v34                              // 000000002B4C: 24464482
	v_and_b32_e32 v34, 15, v0                                  // 000000002B50: 2644008F
	v_lshrrev_b32_e32 v36, 2, v34                              // 000000002B54: 20484482
	v_mul_i32_i24_e32 v36, 0xc0, v36                           // 000000002B58: 0C4848FF 000000C0
	v_add_u32_e32 v35, v36, v35                                // 000000002B60: 68464724
	v_and_b32_e32 v34, 3, v0                                   // 000000002B64: 26440083
	v_mul_i32_i24_e32 v36, 0x308, v34                          // 000000002B68: 0C4844FF 00000308
	v_add_u32_e32 v35, v36, v35                                // 000000002B70: 68464724
	v_lshlrev_b32_e32 v1, 2, v35                               // 000000002B74: 24024682
	s_waitcnt vmcnt(37) lgkmcnt(0)                             // 000000002B78: BF8C8075
	s_barrier                                                  // 000000002B7C: BF8A0000
	ds_read_b128 a[0:3], v1                                    // 000000002B80: DBFE0000 00000001
	ds_read_b128 a[4:7], v1 offset:64                          // 000000002B88: DBFE0040 04000001
	ds_read_b128 a[8:11], v1 offset:128                        // 000000002B90: DBFE0080 08000001
	ds_read_b128 a[12:15], v1 offset:192                       // 000000002B98: DBFE00C0 0C000001
	ds_read_b128 a[16:19], v1 offset:256                       // 000000002BA0: DBFE0100 10000001
	ds_read_b128 a[20:23], v1 offset:320                       // 000000002BA8: DBFE0140 14000001
	ds_read_b128 a[24:27], v1 offset:384                       // 000000002BB0: DBFE0180 18000001
	ds_read_b128 a[28:31], v1 offset:448                       // 000000002BB8: DBFE01C0 1C000001
	ds_read_b128 a[32:35], v1 offset:512                       // 000000002BC0: DBFE0200 20000001
	ds_read_b128 a[36:39], v1 offset:12288                     // 000000002BC8: DBFE3000 24000001
	ds_read_b128 a[40:43], v1 offset:12352                     // 000000002BD0: DBFE3040 28000001
	ds_read_b128 a[44:47], v1 offset:12416                     // 000000002BD8: DBFE3080 2C000001
	ds_read_b128 a[48:51], v1 offset:12480                     // 000000002BE0: DBFE30C0 30000001
	ds_read_b128 a[52:55], v1 offset:12544                     // 000000002BE8: DBFE3100 34000001
	ds_read_b128 a[56:59], v1 offset:12608                     // 000000002BF0: DBFE3140 38000001
	ds_read_b128 a[60:63], v1 offset:12672                     // 000000002BF8: DBFE3180 3C000001
	ds_read_b128 a[64:67], v1 offset:12736                     // 000000002C00: DBFE31C0 40000001
	ds_read_b128 a[68:71], v1 offset:12800                     // 000000002C08: DBFE3200 44000001
	v_mov_b32_e32 v90, 0                                       // 000000002C10: 7EB40280
	v_mov_b32_e32 v91, 0                                       // 000000002C14: 7EB60280
	v_mov_b32_e32 v92, 0                                       // 000000002C18: 7EB80280
	v_mov_b32_e32 v93, 0                                       // 000000002C1C: 7EBA0280
	v_mov_b32_e32 v94, 0                                       // 000000002C20: 7EBC0280
	v_mov_b32_e32 v95, 0                                       // 000000002C24: 7EBE0280
	v_mov_b32_e32 v96, 0                                       // 000000002C28: 7EC00280
	v_mov_b32_e32 v97, 0                                       // 000000002C2C: 7EC20280
	v_mov_b32_e32 v98, 0                                       // 000000002C30: 7EC40280
	v_mov_b32_e32 v99, 0                                       // 000000002C34: 7EC60280
	v_mov_b32_e32 v100, 0                                      // 000000002C38: 7EC80280
	v_mov_b32_e32 v101, 0                                      // 000000002C3C: 7ECA0280
	v_mov_b32_e32 v102, 0                                      // 000000002C40: 7ECC0280
	v_mov_b32_e32 v103, 0                                      // 000000002C44: 7ECE0280
	v_mov_b32_e32 v104, 0                                      // 000000002C48: 7ED00280
	v_mov_b32_e32 v105, 0                                      // 000000002C4C: 7ED20280
	v_mov_b32_e32 v106, 0                                      // 000000002C50: 7ED40280
	v_mov_b32_e32 v107, 0                                      // 000000002C54: 7ED60280
	v_mov_b32_e32 v108, 0                                      // 000000002C58: 7ED80280
	v_mov_b32_e32 v109, 0                                      // 000000002C5C: 7EDA0280
	v_mov_b32_e32 v110, 0                                      // 000000002C60: 7EDC0280
	v_mov_b32_e32 v111, 0                                      // 000000002C64: 7EDE0280
	v_mov_b32_e32 v112, 0                                      // 000000002C68: 7EE00280
	v_mov_b32_e32 v113, 0                                      // 000000002C6C: 7EE20280
	v_mov_b32_e32 v114, 0                                      // 000000002C70: 7EE40280
	v_mov_b32_e32 v115, 0                                      // 000000002C74: 7EE60280
	v_mov_b32_e32 v116, 0                                      // 000000002C78: 7EE80280
	v_mov_b32_e32 v117, 0                                      // 000000002C7C: 7EEA0280
	v_mov_b32_e32 v118, 0                                      // 000000002C80: 7EEC0280
	v_mov_b32_e32 v119, 0                                      // 000000002C84: 7EEE0280
	v_mov_b32_e32 v120, 0                                      // 000000002C88: 7EF00280
	v_mov_b32_e32 v121, 0                                      // 000000002C8C: 7EF20280
	v_mov_b32_e32 v122, 0                                      // 000000002C90: 7EF40280
	v_mov_b32_e32 v123, 0                                      // 000000002C94: 7EF60280
	v_mov_b32_e32 v124, 0                                      // 000000002C98: 7EF80280
	v_mov_b32_e32 v125, 0                                      // 000000002C9C: 7EFA0280
	v_mov_b32_e32 v126, 0                                      // 000000002CA0: 7EFC0280
	v_mov_b32_e32 v127, 0                                      // 000000002CA4: 7EFE0280
	v_mov_b32_e32 v128, 0                                      // 000000002CA8: 7F000280
	v_mov_b32_e32 v129, 0                                      // 000000002CAC: 7F020280
	v_mov_b32_e32 v130, 0                                      // 000000002CB0: 7F040280
	v_mov_b32_e32 v131, 0                                      // 000000002CB4: 7F060280
	v_mov_b32_e32 v132, 0                                      // 000000002CB8: 7F080280
	v_mov_b32_e32 v133, 0                                      // 000000002CBC: 7F0A0280
	v_mov_b32_e32 v134, 0                                      // 000000002CC0: 7F0C0280
	v_mov_b32_e32 v135, 0                                      // 000000002CC4: 7F0E0280
	v_mov_b32_e32 v136, 0                                      // 000000002CC8: 7F100280
	v_mov_b32_e32 v137, 0                                      // 000000002CCC: 7F120280
	v_mov_b32_e32 v138, 0                                      // 000000002CD0: 7F140280
	v_mov_b32_e32 v139, 0                                      // 000000002CD4: 7F160280
	v_mov_b32_e32 v140, 0                                      // 000000002CD8: 7F180280
	v_mov_b32_e32 v141, 0                                      // 000000002CDC: 7F1A0280
	v_mov_b32_e32 v142, 0                                      // 000000002CE0: 7F1C0280
	v_mov_b32_e32 v143, 0                                      // 000000002CE4: 7F1E0280
	v_mov_b32_e32 v144, 0                                      // 000000002CE8: 7F200280
	v_mov_b32_e32 v145, 0                                      // 000000002CEC: 7F220280
	v_mov_b32_e32 v146, 0                                      // 000000002CF0: 7F240280
	v_mov_b32_e32 v147, 0                                      // 000000002CF4: 7F260280
	v_mov_b32_e32 v148, 0                                      // 000000002CF8: 7F280280
	v_mov_b32_e32 v149, 0                                      // 000000002CFC: 7F2A0280
	v_mov_b32_e32 v150, 0                                      // 000000002D00: 7F2C0280
	v_mov_b32_e32 v151, 0                                      // 000000002D04: 7F2E0280
	v_mov_b32_e32 v152, 0                                      // 000000002D08: 7F300280
	v_mov_b32_e32 v153, 0                                      // 000000002D0C: 7F320280
	v_lshrrev_b32_e32 v34, 4, v0                               // 000000002D10: 20440084
	v_mul_i32_i24_e32 v35, 0x100, v34                          // 000000002D14: 0C4644FF 00000100
	v_and_b32_e32 v34, 15, v0                                  // 000000002D1C: 2644008F
	v_mul_i32_i24_e32 v36, 1, v34                              // 000000002D20: 0C484481
	v_add_u32_e32 v22, v36, v35                                // 000000002D24: 682C4724
	s_mul_i32 s56, s7, 32                                      // 000000002D28: 9238A007
	v_add_u32_e32 v22, s56, v22                                // 000000002D2C: 682C2C38
	v_lshlrev_b32_e32 v22, 2, v22                              // 000000002D30: 242C2C82
	v_lshrrev_b32_e32 v34, 4, v0                               // 000000002D34: 20440084
	v_mul_i32_i24_e32 v35, 0x90, v34                           // 000000002D38: 0C4644FF 00000090
	v_and_b32_e32 v36, 15, v0                                  // 000000002D40: 2648008F
	v_add_u32_e32 v23, v36, v35                                // 000000002D44: 682E4724
	s_and_b32 s56, 1, s7                                       // 000000002D48: 86380781
	s_mul_i32 s56, s56, 0x48                                   // 000000002D4C: 9238FF38 00000048
	s_lshr_b32 s57, s7, 1                                      // 000000002D54: 8F398107
	s_mul_i32 s57, s57, 0x240                                  // 000000002D58: 9239FF39 00000240
	s_add_u32 s56, s56, s57                                    // 000000002D60: 80383938
	v_add_u32_e32 v23, s56, v23                                // 000000002D64: 682E2E38
	v_lshlrev_b32_e32 v23, 2, v23                              // 000000002D68: 242E2E82
	v_lshrrev_b32_e32 v34, 4, v0                               // 000000002D6C: 20440084
	v_mul_i32_i24_e32 v35, 4, v34                              // 000000002D70: 0C464484
	v_and_b32_e32 v34, 15, v0                                  // 000000002D74: 2644008F
	v_and_b32_e32 v36, 3, v34                                  // 000000002D78: 26484483
	v_mul_i32_i24_e32 v36, 0x408, v36                          // 000000002D7C: 0C4848FF 00000408
	v_add_u32_e32 v24, v36, v35                                // 000000002D84: 68304724
	v_lshrrev_b32_e32 v34, 2, v34                              // 000000002D88: 20444482
	v_mul_i32_i24_e32 v34, 0x80, v34                           // 000000002D8C: 0C4444FF 00000080
	v_add_u32_e32 v24, v34, v24                                // 000000002D94: 68303122
	s_and_b32 s56, 1, s7                                       // 000000002D98: 86380781
	s_mul_i32 s56, s56, 0x200                                  // 000000002D9C: 9238FF38 00000200
	v_add_u32_e32 v24, s56, v24                                // 000000002DA4: 68303038
	v_lshlrev_b32_e32 v24, 2, v24                              // 000000002DA8: 24303082
	v_lshrrev_b32_e32 v34, 4, v0                               // 000000002DAC: 20440084
	v_mul_i32_i24_e32 v35, 4, v34                              // 000000002DB0: 0C464484
	v_and_b32_e32 v36, 15, v0                                  // 000000002DB4: 2648008F
	v_mul_i32_i24_e32 v36, 18, v36                             // 000000002DB8: 0C484892
	v_add_u32_e32 v25, v36, v35                                // 000000002DBC: 68324724
	s_mul_i32 s56, s7, 0x120                                   // 000000002DC0: 9238FF07 00000120
	v_add_u32_e32 v25, s56, v25                                // 000000002DC8: 68323238
	v_lshlrev_b32_e32 v25, 2, v25                              // 000000002DCC: 24323282
	v_mul_u32_u24_dpp v42, v27, v10 row_newbcast:0 row_mask:0xf bank_mask:0xf// 000000002DD0: 105414FA FF01501B
	v_mul_u32_u24_dpp v43, v27, v10 row_newbcast:1 row_mask:0xf bank_mask:0xf// 000000002DD8: 105614FA FF01511B
	v_mul_u32_u24_dpp v44, v27, v10 row_newbcast:2 row_mask:0xf bank_mask:0xf// 000000002DE0: 105814FA FF01521B
	v_mul_u32_u24_dpp v45, v27, v10 row_newbcast:3 row_mask:0xf bank_mask:0xf// 000000002DE8: 105A14FA FF01531B
	v_mul_u32_u24_dpp v46, v27, v10 row_newbcast:4 row_mask:0xf bank_mask:0xf// 000000002DF0: 105C14FA FF01541B
	v_mul_u32_u24_dpp v47, v27, v10 row_newbcast:5 row_mask:0xf bank_mask:0xf// 000000002DF8: 105E14FA FF01551B
	v_mul_u32_u24_dpp v48, v27, v10 row_newbcast:6 row_mask:0xf bank_mask:0xf// 000000002E00: 106014FA FF01561B
	v_mul_u32_u24_dpp v49, v27, v10 row_newbcast:7 row_mask:0xf bank_mask:0xf// 000000002E08: 106214FA FF01571B
	v_mul_u32_u24_dpp v50, v27, v10 row_newbcast:8 row_mask:0xf bank_mask:0xf// 000000002E10: 106414FA FF01581B
	v_mul_u32_u24_dpp v51, v27, v10 row_newbcast:9 row_mask:0xf bank_mask:0xf// 000000002E18: 106614FA FF01591B
	v_mul_u32_u24_dpp v52, v27, v10 row_newbcast:10 row_mask:0xf bank_mask:0xf// 000000002E20: 106814FA FF015A1B
	v_mul_u32_u24_dpp v53, v27, v10 row_newbcast:11 row_mask:0xf bank_mask:0xf// 000000002E28: 106A14FA FF015B1B
	v_mul_u32_u24_dpp v54, v27, v10 row_newbcast:12 row_mask:0xf bank_mask:0xf// 000000002E30: 106C14FA FF015C1B
	v_mul_u32_u24_dpp v55, v27, v10 row_newbcast:13 row_mask:0xf bank_mask:0xf// 000000002E38: 106E14FA FF015D1B
	v_mul_u32_u24_dpp v56, v27, v10 row_newbcast:14 row_mask:0xf bank_mask:0xf// 000000002E40: 107014FA FF015E1B
	v_mul_u32_u24_dpp v57, v27, v10 row_newbcast:15 row_mask:0xf bank_mask:0xf// 000000002E48: 107214FA FF015F1B
	v_add_u32_dpp v42, v29, v42 row_newbcast:0 row_mask:0xf bank_mask:0xf// 000000002E50: 685454FA FF01501D
	v_add_u32_dpp v43, v29, v43 row_newbcast:1 row_mask:0xf bank_mask:0xf// 000000002E58: 685656FA FF01511D
	v_add_u32_dpp v44, v29, v44 row_newbcast:2 row_mask:0xf bank_mask:0xf// 000000002E60: 685858FA FF01521D
	v_add_u32_dpp v45, v29, v45 row_newbcast:3 row_mask:0xf bank_mask:0xf// 000000002E68: 685A5AFA FF01531D
	v_add_u32_dpp v46, v29, v46 row_newbcast:4 row_mask:0xf bank_mask:0xf// 000000002E70: 685C5CFA FF01541D
	v_add_u32_dpp v47, v29, v47 row_newbcast:5 row_mask:0xf bank_mask:0xf// 000000002E78: 685E5EFA FF01551D
	v_add_u32_dpp v48, v29, v48 row_newbcast:6 row_mask:0xf bank_mask:0xf// 000000002E80: 686060FA FF01561D
	v_add_u32_dpp v49, v29, v49 row_newbcast:7 row_mask:0xf bank_mask:0xf// 000000002E88: 686262FA FF01571D
	v_add_u32_dpp v50, v29, v50 row_newbcast:8 row_mask:0xf bank_mask:0xf// 000000002E90: 686464FA FF01581D
	v_add_u32_dpp v51, v29, v51 row_newbcast:9 row_mask:0xf bank_mask:0xf// 000000002E98: 686666FA FF01591D
	v_add_u32_dpp v52, v29, v52 row_newbcast:10 row_mask:0xf bank_mask:0xf// 000000002EA0: 686868FA FF015A1D
	v_add_u32_dpp v53, v29, v53 row_newbcast:11 row_mask:0xf bank_mask:0xf// 000000002EA8: 686A6AFA FF015B1D
	v_add_u32_dpp v54, v29, v54 row_newbcast:12 row_mask:0xf bank_mask:0xf// 000000002EB0: 686C6CFA FF015C1D
	v_add_u32_dpp v55, v29, v55 row_newbcast:13 row_mask:0xf bank_mask:0xf// 000000002EB8: 686E6EFA FF015D1D
	v_add_u32_dpp v56, v29, v56 row_newbcast:14 row_mask:0xf bank_mask:0xf// 000000002EC0: 687070FA FF015E1D
	v_add_u32_dpp v57, v29, v57 row_newbcast:15 row_mask:0xf bank_mask:0xf// 000000002EC8: 687272FA FF015F1D
	s_mov_b32 s56, m0                                          // 000000002ED0: BEB8007C
	s_set_gpr_idx_on s51, gpr_idx(SRC0)                        // 000000002ED4: BF110133
	v_add_u32_e32 v38, v42, v3                                 // 000000002ED8: 684C072A
	v_add_u32_e32 v39, v43, v3                                 // 000000002EDC: 684E072B
	v_add_u32_e32 v40, v44, v3                                 // 000000002EE0: 6850072C
	v_add_u32_e32 v41, v45, v3                                 // 000000002EE4: 6852072D
	s_set_gpr_idx_off                                          // 000000002EE8: BF9C0000
	s_mov_b32 m0, s56                                          // 000000002EEC: BEFC0038
	v_add_u32_e32 v42, v42, v2                                 // 000000002EF0: 6854052A
	v_add_u32_e32 v43, v43, v2                                 // 000000002EF4: 6856052B
	v_add_u32_e32 v44, v44, v2                                 // 000000002EF8: 6858052C
	v_add_u32_e32 v45, v45, v2                                 // 000000002EFC: 685A052D
	v_add_u32_e32 v46, v46, v2                                 // 000000002F00: 685C052E
	v_add_u32_e32 v47, v47, v2                                 // 000000002F04: 685E052F
	v_add_u32_e32 v48, v48, v2                                 // 000000002F08: 68600530
	v_add_u32_e32 v49, v49, v2                                 // 000000002F0C: 68620531
	v_add_u32_e32 v50, v50, v2                                 // 000000002F10: 68640532
	v_add_u32_e32 v51, v51, v2                                 // 000000002F14: 68660533
	v_add_u32_e32 v52, v52, v2                                 // 000000002F18: 68680534
	v_add_u32_e32 v53, v53, v2                                 // 000000002F1C: 686A0535
	v_add_u32_e32 v54, v54, v2                                 // 000000002F20: 686C0536
	v_add_u32_e32 v55, v55, v2                                 // 000000002F24: 686E0537
	v_add_u32_e32 v56, v56, v2                                 // 000000002F28: 68700538
	v_add_u32_e32 v57, v57, v2                                 // 000000002F2C: 68720539
	buffer_load_dword v27, v28, s[24:27], 0 offen              // 000000002F30: E0501000 80061B1C
	v_add_u32_e32 v28, s73, v28                                // 000000002F38: 68383849
	buffer_load_dword v186, v42, s[20:23], 0 offen             // 000000002F3C: E0501000 8005BA2A
	buffer_load_dword v187, v42, s[20:23], 0 offen offset:64   // 000000002F44: E0501040 8005BB2A
	buffer_load_dword v188, v43, s[20:23], 0 offen             // 000000002F4C: E0501000 8005BC2B
	buffer_load_dword v189, v43, s[20:23], 0 offen offset:64   // 000000002F54: E0501040 8005BD2B
	buffer_load_dword v190, v44, s[20:23], 0 offen             // 000000002F5C: E0501000 8005BE2C
	buffer_load_dword v191, v44, s[20:23], 0 offen offset:64   // 000000002F64: E0501040 8005BF2C
	buffer_load_dword v192, v45, s[20:23], 0 offen             // 000000002F6C: E0501000 8005C02D
	buffer_load_dword v193, v45, s[20:23], 0 offen offset:64   // 000000002F74: E0501040 8005C12D
	buffer_load_dword v194, v46, s[20:23], 0 offen             // 000000002F7C: E0501000 8005C22E
	buffer_load_dword v195, v46, s[20:23], 0 offen offset:64   // 000000002F84: E0501040 8005C32E
	buffer_load_dword v196, v47, s[20:23], 0 offen             // 000000002F8C: E0501000 8005C42F
	buffer_load_dword v197, v47, s[20:23], 0 offen offset:64   // 000000002F94: E0501040 8005C52F
	buffer_load_dword v198, v48, s[20:23], 0 offen             // 000000002F9C: E0501000 8005C630
	buffer_load_dword v199, v48, s[20:23], 0 offen offset:64   // 000000002FA4: E0501040 8005C730
	buffer_load_dword v200, v49, s[20:23], 0 offen             // 000000002FAC: E0501000 8005C831
	buffer_load_dword v201, v49, s[20:23], 0 offen offset:64   // 000000002FB4: E0501040 8005C931
	buffer_load_dword v78, v38, s[20:23], 0 offen              // 000000002FBC: E0501000 80054E26
	buffer_load_dword v79, v39, s[20:23], 0 offen              // 000000002FC4: E0501000 80054F27
	buffer_load_dword v80, v40, s[20:23], 0 offen              // 000000002FCC: E0501000 80055028
	buffer_load_dword v81, v41, s[20:23], 0 offen              // 000000002FD4: E0501000 80055129
	buffer_load_dword v202, v50, s[20:23], 0 offen             // 000000002FDC: E0501000 8005CA32
	buffer_load_dword v203, v50, s[20:23], 0 offen offset:64   // 000000002FE4: E0501040 8005CB32
	buffer_load_dword v204, v51, s[20:23], 0 offen             // 000000002FEC: E0501000 8005CC33
	buffer_load_dword v205, v51, s[20:23], 0 offen offset:64   // 000000002FF4: E0501040 8005CD33
	buffer_load_dword v206, v52, s[20:23], 0 offen             // 000000002FFC: E0501000 8005CE34
	buffer_load_dword v207, v52, s[20:23], 0 offen offset:64   // 000000003004: E0501040 8005CF34
	buffer_load_dword v208, v53, s[20:23], 0 offen             // 00000000300C: E0501000 8005D035
	buffer_load_dword v209, v53, s[20:23], 0 offen offset:64   // 000000003014: E0501040 8005D135
	buffer_load_dword v210, v54, s[20:23], 0 offen             // 00000000301C: E0501000 8005D236
	buffer_load_dword v211, v54, s[20:23], 0 offen offset:64   // 000000003024: E0501040 8005D336
	buffer_load_dword v212, v55, s[20:23], 0 offen             // 00000000302C: E0501000 8005D437
	buffer_load_dword v213, v55, s[20:23], 0 offen offset:64   // 000000003034: E0501040 8005D537
	buffer_load_dword v214, v56, s[20:23], 0 offen             // 00000000303C: E0501000 8005D638
	buffer_load_dword v215, v56, s[20:23], 0 offen offset:64   // 000000003044: E0501040 8005D738
	buffer_load_dword v216, v57, s[20:23], 0 offen             // 00000000304C: E0501000 8005D839
	buffer_load_dword v217, v57, s[20:23], 0 offen offset:64   // 000000003054: E0501040 8005D939
	s_waitcnt vmcnt(37) lgkmcnt(0)                             // 00000000305C: BF8C8075
	s_barrier                                                  // 000000003060: BF8A0000
	v_mul_u32_u24_dpp v42, v26, v10 row_newbcast:0 row_mask:0xf bank_mask:0xf// 000000003064: 105414FA FF01501A
	v_mul_u32_u24_dpp v43, v26, v10 row_newbcast:1 row_mask:0xf bank_mask:0xf// 00000000306C: 105614FA FF01511A
	v_mul_u32_u24_dpp v44, v26, v10 row_newbcast:2 row_mask:0xf bank_mask:0xf// 000000003074: 105814FA FF01521A
	v_mul_u32_u24_dpp v45, v26, v10 row_newbcast:3 row_mask:0xf bank_mask:0xf// 00000000307C: 105A14FA FF01531A
	v_mul_u32_u24_dpp v46, v26, v10 row_newbcast:4 row_mask:0xf bank_mask:0xf// 000000003084: 105C14FA FF01541A
	v_mul_u32_u24_dpp v47, v26, v10 row_newbcast:5 row_mask:0xf bank_mask:0xf// 00000000308C: 105E14FA FF01551A
	v_mul_u32_u24_dpp v48, v26, v10 row_newbcast:6 row_mask:0xf bank_mask:0xf// 000000003094: 106014FA FF01561A
	v_mul_u32_u24_dpp v49, v26, v10 row_newbcast:7 row_mask:0xf bank_mask:0xf// 00000000309C: 106214FA FF01571A
	v_mul_u32_u24_dpp v50, v26, v10 row_newbcast:8 row_mask:0xf bank_mask:0xf// 0000000030A4: 106414FA FF01581A
	v_mul_u32_u24_dpp v51, v26, v10 row_newbcast:9 row_mask:0xf bank_mask:0xf// 0000000030AC: 106614FA FF01591A
	v_mul_u32_u24_dpp v52, v26, v10 row_newbcast:10 row_mask:0xf bank_mask:0xf// 0000000030B4: 106814FA FF015A1A
	v_mul_u32_u24_dpp v53, v26, v10 row_newbcast:11 row_mask:0xf bank_mask:0xf// 0000000030BC: 106A14FA FF015B1A
	v_mul_u32_u24_dpp v54, v26, v10 row_newbcast:12 row_mask:0xf bank_mask:0xf// 0000000030C4: 106C14FA FF015C1A
	v_mul_u32_u24_dpp v55, v26, v10 row_newbcast:13 row_mask:0xf bank_mask:0xf// 0000000030CC: 106E14FA FF015D1A
	v_mul_u32_u24_dpp v56, v26, v10 row_newbcast:14 row_mask:0xf bank_mask:0xf// 0000000030D4: 107014FA FF015E1A
	v_mul_u32_u24_dpp v57, v26, v10 row_newbcast:15 row_mask:0xf bank_mask:0xf// 0000000030DC: 107214FA FF015F1A
	v_add_u32_dpp v42, v29, v42 row_newbcast:0 row_mask:0xf bank_mask:0xf// 0000000030E4: 685454FA FF01501D
	v_add_u32_dpp v43, v29, v43 row_newbcast:1 row_mask:0xf bank_mask:0xf// 0000000030EC: 685656FA FF01511D
	v_add_u32_dpp v44, v29, v44 row_newbcast:2 row_mask:0xf bank_mask:0xf// 0000000030F4: 685858FA FF01521D
	v_add_u32_dpp v45, v29, v45 row_newbcast:3 row_mask:0xf bank_mask:0xf// 0000000030FC: 685A5AFA FF01531D
	v_add_u32_dpp v46, v29, v46 row_newbcast:4 row_mask:0xf bank_mask:0xf// 000000003104: 685C5CFA FF01541D
	v_add_u32_dpp v47, v29, v47 row_newbcast:5 row_mask:0xf bank_mask:0xf// 00000000310C: 685E5EFA FF01551D
	v_add_u32_dpp v48, v29, v48 row_newbcast:6 row_mask:0xf bank_mask:0xf// 000000003114: 686060FA FF01561D
	v_add_u32_dpp v49, v29, v49 row_newbcast:7 row_mask:0xf bank_mask:0xf// 00000000311C: 686262FA FF01571D
	v_add_u32_dpp v50, v29, v50 row_newbcast:8 row_mask:0xf bank_mask:0xf// 000000003124: 686464FA FF01581D
	v_add_u32_dpp v51, v29, v51 row_newbcast:9 row_mask:0xf bank_mask:0xf// 00000000312C: 686666FA FF01591D
	v_add_u32_dpp v52, v29, v52 row_newbcast:10 row_mask:0xf bank_mask:0xf// 000000003134: 686868FA FF015A1D
	v_add_u32_dpp v53, v29, v53 row_newbcast:11 row_mask:0xf bank_mask:0xf// 00000000313C: 686A6AFA FF015B1D
	v_add_u32_dpp v54, v29, v54 row_newbcast:12 row_mask:0xf bank_mask:0xf// 000000003144: 686C6CFA FF015C1D
	v_add_u32_dpp v55, v29, v55 row_newbcast:13 row_mask:0xf bank_mask:0xf// 00000000314C: 686E6EFA FF015D1D
	v_add_u32_dpp v56, v29, v56 row_newbcast:14 row_mask:0xf bank_mask:0xf// 000000003154: 687070FA FF015E1D
	v_add_u32_dpp v57, v29, v57 row_newbcast:15 row_mask:0xf bank_mask:0xf// 00000000315C: 687272FA FF015F1D
	s_mov_b32 s56, m0                                          // 000000003164: BEB8007C
	s_set_gpr_idx_on s51, gpr_idx(SRC0)                        // 000000003168: BF110133
	v_add_u32_e32 v38, v42, v3                                 // 00000000316C: 684C072A
	v_add_u32_e32 v39, v43, v3                                 // 000000003170: 684E072B
	v_add_u32_e32 v40, v44, v3                                 // 000000003174: 6850072C
	v_add_u32_e32 v41, v45, v3                                 // 000000003178: 6852072D
	s_set_gpr_idx_off                                          // 00000000317C: BF9C0000
	s_mov_b32 m0, s56                                          // 000000003180: BEFC0038
	v_add_u32_e32 v42, v42, v2                                 // 000000003184: 6854052A
	v_add_u32_e32 v43, v43, v2                                 // 000000003188: 6856052B
	v_add_u32_e32 v44, v44, v2                                 // 00000000318C: 6858052C
	v_add_u32_e32 v45, v45, v2                                 // 000000003190: 685A052D
	v_add_u32_e32 v46, v46, v2                                 // 000000003194: 685C052E
	v_add_u32_e32 v47, v47, v2                                 // 000000003198: 685E052F
	v_add_u32_e32 v48, v48, v2                                 // 00000000319C: 68600530
	v_add_u32_e32 v49, v49, v2                                 // 0000000031A0: 68620531
	v_add_u32_e32 v50, v50, v2                                 // 0000000031A4: 68640532
	v_add_u32_e32 v51, v51, v2                                 // 0000000031A8: 68660533
	v_add_u32_e32 v52, v52, v2                                 // 0000000031AC: 68680534
	v_add_u32_e32 v53, v53, v2                                 // 0000000031B0: 686A0535
	v_add_u32_e32 v54, v54, v2                                 // 0000000031B4: 686C0536
	v_add_u32_e32 v55, v55, v2                                 // 0000000031B8: 686E0537
	v_add_u32_e32 v56, v56, v2                                 // 0000000031BC: 68700538
	v_add_u32_e32 v57, v57, v2                                 // 0000000031C0: 68720539
	ds_write_b32 v22, v154                                     // 0000000031C4: D81A0000 00009A16
	ds_write_b32 v22, v155 offset:64                           // 0000000031CC: D81A0040 00009B16
	ds_write_b32 v22, v156 offset:4128                         // 0000000031D4: D81A1020 00009C16
	ds_write_b32 v22, v157 offset:4192                         // 0000000031DC: D81A1060 00009D16
	ds_write_b32 v22, v158 offset:8256                         // 0000000031E4: D81A2040 00009E16
	ds_write_b32 v22, v159 offset:8320                         // 0000000031EC: D81A2080 00009F16
	ds_write_b32 v22, v160 offset:12384                        // 0000000031F4: D81A3060 0000A016
	ds_write_b32 v22, v161 offset:12448                        // 0000000031FC: D81A30A0 0000A116
	ds_write_b32 v22, v162 offset:512                          // 000000003204: D81A0200 0000A216
	ds_write_b32 v22, v163 offset:576                          // 00000000320C: D81A0240 0000A316
	ds_write_b32 v22, v164 offset:4640                         // 000000003214: D81A1220 0000A416
	ds_write_b32 v22, v165 offset:4704                         // 00000000321C: D81A1260 0000A516
	ds_write_b32 v22, v166 offset:8768                         // 000000003224: D81A2240 0000A616
	ds_write_b32 v22, v167 offset:8832                         // 00000000322C: D81A2280 0000A716
	ds_write_b32 v22, v168 offset:12896                        // 000000003234: D81A3260 0000A816
	ds_write_b32 v22, v169 offset:12960                        // 00000000323C: D81A32A0 0000A916
	ds_write_b32 v23, v74 offset:16512                         // 000000003244: D81A4080 00004A17
	ds_write_b32 v23, v75 offset:16584                         // 00000000324C: D81A40C8 00004B17
	ds_write_b32 v23, v76 offset:16656                         // 000000003254: D81A4110 00004C17
	ds_write_b32 v23, v77 offset:16728                         // 00000000325C: D81A4158 00004D17
	s_waitcnt lgkmcnt(0)                                       // 000000003264: BF8CC07F
	s_barrier                                                  // 000000003268: BF8A0000
	s_cmp_lt_i32 s7, 2                                         // 00000000326C: BF048207
	s_cbranch_scc0 label_03ED                                  // 000000003270: BF840010
	ds_read_b128 a[72:75], v24                                 // 000000003274: DBFE0000 48000018
	ds_read_b128 a[76:79], v24 offset:64                       // 00000000327C: DBFE0040 4C000018
	ds_read_b128 a[80:83], v24 offset:128                      // 000000003284: DBFE0080 50000018
	ds_read_b128 a[84:87], v24 offset:192                      // 00000000328C: DBFE00C0 54000018
	ds_read_b128 a[88:91], v24 offset:256                      // 000000003294: DBFE0100 58000018
	ds_read_b128 a[92:95], v24 offset:320                      // 00000000329C: DBFE0140 5C000018
	ds_read_b128 a[96:99], v24 offset:384                      // 0000000032A4: DBFE0180 60000018
	ds_read_b128 a[100:103], v24 offset:448                    // 0000000032AC: DBFE01C0 64000018

00000000000032b4 <label_03ED>:
	s_waitcnt lgkmcnt(0)                                       // 0000000032B4: BF8CC07F
	s_barrier                                                  // 0000000032B8: BF8A0000
	ds_write_b32 v22, v170                                     // 0000000032BC: D81A0000 0000AA16
	ds_write_b32 v22, v171 offset:64                           // 0000000032C4: D81A0040 0000AB16
	ds_write_b32 v22, v172 offset:4128                         // 0000000032CC: D81A1020 0000AC16
	ds_write_b32 v22, v173 offset:4192                         // 0000000032D4: D81A1060 0000AD16
	ds_write_b32 v22, v174 offset:8256                         // 0000000032DC: D81A2040 0000AE16
	ds_write_b32 v22, v175 offset:8320                         // 0000000032E4: D81A2080 0000AF16
	ds_write_b32 v22, v176 offset:12384                        // 0000000032EC: D81A3060 0000B016
	ds_write_b32 v22, v177 offset:12448                        // 0000000032F4: D81A30A0 0000B116
	ds_write_b32 v22, v178 offset:512                          // 0000000032FC: D81A0200 0000B216
	ds_write_b32 v22, v179 offset:576                          // 000000003304: D81A0240 0000B316
	ds_write_b32 v22, v180 offset:4640                         // 00000000330C: D81A1220 0000B416
	ds_write_b32 v22, v181 offset:4704                         // 000000003314: D81A1260 0000B516
	ds_write_b32 v22, v182 offset:8768                         // 00000000331C: D81A2240 0000B616
	ds_write_b32 v22, v183 offset:8832                         // 000000003324: D81A2280 0000B716
	ds_write_b32 v22, v184 offset:12896                        // 00000000332C: D81A3260 0000B816
	ds_write_b32 v22, v185 offset:12960                        // 000000003334: D81A32A0 0000B916
	s_waitcnt lgkmcnt(0)                                       // 00000000333C: BF8CC07F
	s_barrier                                                  // 000000003340: BF8A0000
	ds_read_b64 a[104:105], v25 offset:16512                   // 000000003344: DAEC4080 68000019
	ds_read_b64 a[106:107], v25 offset:16520                   // 00000000334C: DAEC4088 6A000019
	s_cmp_lt_i32 s7, 2                                         // 000000003354: BF048207
	s_cbranch_scc1 label_0427                                  // 000000003358: BF850010
	ds_read_b128 a[72:75], v24                                 // 00000000335C: DBFE0000 48000018
	ds_read_b128 a[76:79], v24 offset:64                       // 000000003364: DBFE0040 4C000018
	ds_read_b128 a[80:83], v24 offset:128                      // 00000000336C: DBFE0080 50000018
	ds_read_b128 a[84:87], v24 offset:192                      // 000000003374: DBFE00C0 54000018
	ds_read_b128 a[88:91], v24 offset:256                      // 00000000337C: DBFE0100 58000018
	ds_read_b128 a[92:95], v24 offset:320                      // 000000003384: DBFE0140 5C000018
	ds_read_b128 a[96:99], v24 offset:384                      // 00000000338C: DBFE0180 60000018
	ds_read_b128 a[100:103], v24 offset:448                    // 000000003394: DBFE01C0 64000018

000000000000339c <label_0427>:
	s_waitcnt lgkmcnt(0)                                       // 00000000339C: BF8CC07F
	s_barrier                                                  // 0000000033A0: BF8A0000
	s_cmp_lt_u32 s71, 1                                        // 0000000033A4: BF0A8147
	s_cbranch_scc1 label_12CC                                  // 0000000033A8: BF850EA1
	s_cmp_lt_i32 s7, 2                                         // 0000000033AC: BF048207
	s_cbranch_scc0 label_0B7D                                  // 0000000033B0: BF840750

00000000000033b4 <label_042D>:
	s_waitcnt vmcnt(16) lgkmcnt(0)                             // 0000000033B4: BF8C4070
	s_barrier                                                  // 0000000033B8: BF8A0000
	v_mfma_f32_16x16x32_fp8_fp8 v[82:85], a[72:73], a[0:1], 0  // 0000000033BC: D3F30052 1A020148
	ds_write_b32 v22, v186                                     // 0000000033C4: D81A0000 0000BA16
	ds_write_b32 v22, v187 offset:64                           // 0000000033CC: D81A0040 0000BB16
	v_mfma_f32_16x16x32_fp8_fp8 v[82:85], a[74:75], a[2:3], v[82:85]// 0000000033D4: D3F30052 1D4A054A
	buffer_load_dword v26, v28, s[24:27], 0 offen              // 0000000033DC: E0501000 80061A1C
	v_mfma_f32_16x16x32_fp8_fp8 v[82:85], a[76:77], a[4:5], v[82:85]// 0000000033E4: D3F30052 1D4A094C
	ds_write_b32 v22, v188 offset:4128                         // 0000000033EC: D81A1020 0000BC16
	ds_write_b32 v22, v189 offset:4192                         // 0000000033F4: D81A1060 0000BD16
	v_mfma_f32_16x16x32_fp8_fp8 v[82:85], a[78:79], a[6:7], v[82:85]// 0000000033FC: D3F30052 1D4A0D4E
	v_mfma_f32_16x16x32_fp8_fp8 v[82:85], a[80:81], a[8:9], v[82:85]// 000000003404: D3F30052 1D4A1150
	ds_write_b32 v22, v190 offset:8256                         // 00000000340C: D81A2040 0000BE16
	ds_write_b32 v22, v191 offset:8320                         // 000000003414: D81A2080 0000BF16
	v_mfma_f32_16x16x32_fp8_fp8 v[82:85], a[82:83], a[10:11], v[82:85]// 00000000341C: D3F30052 1D4A1552
	v_mfma_f32_16x16x32_fp8_fp8 v[82:85], a[84:85], a[12:13], v[82:85]// 000000003424: D3F30052 1D4A1954
	ds_write_b32 v22, v192 offset:12384                        // 00000000342C: D81A3060 0000C016
	ds_write_b32 v22, v193 offset:12448                        // 000000003434: D81A30A0 0000C116
	v_mfma_f32_16x16x32_fp8_fp8 v[82:85], a[86:87], a[14:15], v[82:85]// 00000000343C: D3F30052 1D4A1D56
	v_mfma_f32_16x16x32_fp8_fp8 v[82:85], a[88:89], a[16:17], v[82:85]// 000000003444: D3F30052 1D4A2158
	ds_write_b32 v22, v194 offset:512                          // 00000000344C: D81A0200 0000C216
	ds_write_b32 v22, v195 offset:576                          // 000000003454: D81A0240 0000C316
	v_mfma_f32_16x16x32_fp8_fp8 v[82:85], a[90:91], a[18:19], v[82:85]// 00000000345C: D3F30052 1D4A255A
	v_mfma_f32_16x16x32_fp8_fp8 v[82:85], a[92:93], a[20:21], v[82:85]// 000000003464: D3F30052 1D4A295C
	ds_write_b32 v22, v196 offset:4640                         // 00000000346C: D81A1220 0000C416
	ds_write_b32 v22, v197 offset:4704                         // 000000003474: D81A1260 0000C516
	v_mfma_f32_16x16x32_fp8_fp8 v[82:85], a[94:95], a[22:23], v[82:85]// 00000000347C: D3F30052 1D4A2D5E
	v_mfma_f32_16x16x32_fp8_fp8 v[82:85], a[96:97], a[24:25], v[82:85]// 000000003484: D3F30052 1D4A3160
	ds_write_b32 v22, v198 offset:8768                         // 00000000348C: D81A2240 0000C616
	ds_write_b32 v22, v199 offset:8832                         // 000000003494: D81A2280 0000C716
	v_mfma_f32_16x16x32_fp8_fp8 v[82:85], a[98:99], a[26:27], v[82:85]// 00000000349C: D3F30052 1D4A3562
	v_mfma_f32_16x16x32_fp8_fp8 v[82:85], a[100:101], a[28:29], v[82:85]// 0000000034A4: D3F30052 1D4A3964
	ds_write_b32 v22, v200 offset:12896                        // 0000000034AC: D81A3260 0000C816
	ds_write_b32 v22, v201 offset:12960                        // 0000000034B4: D81A32A0 0000C916
	v_mfma_f32_16x16x32_fp8_fp8 v[82:85], a[102:103], a[30:31], v[82:85]// 0000000034BC: D3F30052 1D4A3D66
	v_mfma_f32_16x16x32_fp8_fp8 v[82:85], a[104:105], a[32:33], v[82:85]// 0000000034C4: D3F30052 1D4A4168
	ds_write_b32 v23, v78 offset:16512                         // 0000000034CC: D81A4080 00004E17
	ds_write_b32 v23, v79 offset:16584                         // 0000000034D4: D81A40C8 00004F17
	v_mfma_f32_16x16x32_fp8_fp8 v[82:85], a[106:107], a[34:35], v[82:85]// 0000000034DC: D3F30052 1D4A456A
	buffer_load_dword v74, v38, s[20:23], 0 offen              // 0000000034E4: E0501000 80054A26
	buffer_load_dword v75, v39, s[20:23], 0 offen              // 0000000034EC: E0501000 80054B27
	v_add_u32_e32 v28, s73, v28                                // 0000000034F4: 68383849
	v_mfma_f32_16x16x32_fp8_fp8 v[86:89], a[72:73], a[36:37], 0// 0000000034F8: D3F30056 1A024948
	v_mfma_f32_16x16x32_fp8_fp8 v[86:89], a[74:75], a[38:39], v[86:89]// 000000003500: D3F30056 1D5A4D4A
	v_mfma_f32_16x16x32_fp8_fp8 v[86:89], a[76:77], a[40:41], v[86:89]// 000000003508: D3F30056 1D5A514C
	v_mfma_f32_16x16x32_fp8_fp8 v[86:89], a[78:79], a[42:43], v[86:89]// 000000003510: D3F30056 1D5A554E
	v_mfma_f32_16x16x32_fp8_fp8 v[86:89], a[80:81], a[44:45], v[86:89]// 000000003518: D3F30056 1D5A5950
	v_mfma_f32_16x16x32_fp8_fp8 v[86:89], a[82:83], a[46:47], v[86:89]// 000000003520: D3F30056 1D5A5D52
	v_mfma_f32_16x16x32_fp8_fp8 v[86:89], a[84:85], a[48:49], v[86:89]// 000000003528: D3F30056 1D5A6154
	buffer_load_dword v76, v40, s[20:23], 0 offen              // 000000003530: E0501000 80054C28
	buffer_load_dword v77, v41, s[20:23], 0 offen              // 000000003538: E0501000 80054D29
	v_mfma_f32_16x16x32_fp8_fp8 v[86:89], a[86:87], a[50:51], v[86:89]// 000000003540: D3F30056 1D5A6556
	ds_write_b32 v23, v80 offset:16656                         // 000000003548: D81A4110 00005017
	ds_write_b32 v23, v81 offset:16728                         // 000000003550: D81A4158 00005117
	v_mfma_f32_16x16x32_fp8_fp8 v[86:89], a[88:89], a[52:53], v[86:89]// 000000003558: D3F30056 1D5A6958
	s_waitcnt lgkmcnt(4)                                       // 000000003560: BF8CC47F
	s_barrier                                                  // 000000003564: BF8A0000
	ds_read_b128 a[72:75], v24                                 // 000000003568: DBFE0000 48000018
	v_mfma_f32_16x16x32_fp8_fp8 v[86:89], a[90:91], a[54:55], v[86:89]// 000000003570: D3F30056 1D5A6D5A
	ds_read_b128 a[76:79], v24 offset:64                       // 000000003578: DBFE0040 4C000018
	v_mfma_f32_16x16x32_fp8_fp8 v[86:89], a[92:93], a[56:57], v[86:89]// 000000003580: D3F30056 1D5A715C
	ds_read_b128 a[80:83], v24 offset:128                      // 000000003588: DBFE0080 50000018
	v_mfma_f32_16x16x32_fp8_fp8 v[86:89], a[94:95], a[58:59], v[86:89]// 000000003590: D3F30056 1D5A755E
	ds_read_b128 a[84:87], v24 offset:192                      // 000000003598: DBFE00C0 54000018
	v_mfma_f32_16x16x32_fp8_fp8 v[86:89], a[96:97], a[60:61], v[86:89]// 0000000035A0: D3F30056 1D5A7960
	ds_read_b128 a[88:91], v24 offset:256                      // 0000000035A8: DBFE0100 58000018
	v_mfma_f32_16x16x32_fp8_fp8 v[86:89], a[98:99], a[62:63], v[86:89]// 0000000035B0: D3F30056 1D5A7D62
	ds_read_b128 a[92:95], v24 offset:320                      // 0000000035B8: DBFE0140 5C000018
	v_mfma_f32_16x16x32_fp8_fp8 v[86:89], a[100:101], a[64:65], v[86:89]// 0000000035C0: D3F30056 1D5A8164
	ds_read_b128 a[96:99], v24 offset:384                      // 0000000035C8: DBFE0180 60000018
	v_mfma_f32_16x16x32_fp8_fp8 v[86:89], a[102:103], a[66:67], v[86:89]// 0000000035D0: D3F30056 1D5A8566
	ds_read_b128 a[100:103], v24 offset:448                    // 0000000035D8: DBFE01C0 64000018
	v_mfma_f32_16x16x32_fp8_fp8 v[86:89], a[104:105], a[68:69], v[86:89]// 0000000035E0: D3F30056 1D5A8968
	v_mfma_f32_16x16x32_fp8_fp8 v[86:89], a[106:107], a[70:71], v[86:89]// 0000000035E8: D3F30056 1D5A8D6A
	s_cmp_le_i32 s83, s82                                      // 0000000035F0: BF055253
	s_cbranch_scc1 label_04E1                                  // 0000000035F4: BF850023
	s_add_u32 s57, s82, 0                                      // 0000000035F8: 80398052
	v_mov_b32_e32 v38, s57                                     // 0000000035FC: 7E4C0239
	s_sub_u32 s56, s83, 63                                     // 000000003600: 80B8BF53
	s_mul_i32 s57, s7, 16                                      // 000000003604: 92399007
	v_lshrrev_b32_e32 v47, 4, v0                               // 000000003608: 205E0084
	v_mul_i32_i24_e32 v47, 4, v47                              // 00000000360C: 0C5E5E84
	v_add_u32_e32 v47, s56, v47                                // 000000003610: 685E5E38
	v_add_u32_e32 v47, s57, v47                                // 000000003614: 685E5E39
	v_add_u32_e32 v48, 1, v47                                  // 000000003618: 68605E81
	v_add_u32_e32 v49, 2, v47                                  // 00000000361C: 68625E82
	v_add_u32_e32 v50, 3, v47                                  // 000000003620: 68645E83
	v_cmp_le_u32_e64 s[34:35], v47, v38                        // 000000003624: D0CB0022 00024D2F
	v_add_u32_e32 v47, 64, v47                                 // 00000000362C: 685E5EC0
	s_nop 0                                                    // 000000003630: BF800000
	v_cndmask_b32_e64 v82, v11, v82, s[34:35]                  // 000000003634: D1000052 008AA50B
	v_cmp_le_u32_e64 s[34:35], v48, v38                        // 00000000363C: D0CB0022 00024D30
	v_add_u32_e32 v48, 64, v48                                 // 000000003644: 686060C0
	s_nop 0                                                    // 000000003648: BF800000
	v_cndmask_b32_e64 v83, v11, v83, s[34:35]                  // 00000000364C: D1000053 008AA70B
	v_cmp_le_u32_e64 s[34:35], v49, v38                        // 000000003654: D0CB0022 00024D31
	v_add_u32_e32 v49, 64, v49                                 // 00000000365C: 686262C0
	s_nop 0                                                    // 000000003660: BF800000
	v_cndmask_b32_e64 v84, v11, v84, s[34:35]                  // 000000003664: D1000054 008AA90B
	v_cmp_le_u32_e64 s[34:35], v50, v38                        // 00000000366C: D0CB0022 00024D32
	v_add_u32_e32 v50, 64, v50                                 // 000000003674: 686464C0
	s_nop 0                                                    // 000000003678: BF800000
	v_cndmask_b32_e64 v85, v11, v85, s[34:35]                  // 00000000367C: D1000055 008AAB0B

0000000000003684 <label_04E1>:
	v_mov_b32_e32 v8, v82                                      // 000000003684: 7E100352
	v_max3_f32 v8, v82, v83, v8                                // 000000003688: D1D30008 0422A752
	v_max3_f32 v8, v84, v85, v8                                // 000000003690: D1D30008 0422AB54
	ds_write_b32 v5, v8 offset:21120                           // 000000003698: D81A5280 00000805
	v_perm_b32 v34, v156, v154, s54                            // 0000000036A0: D1ED0022 00DB359C
	v_perm_b32 v35, v156, v154, s55                            // 0000000036A8: D1ED0023 00DF359C
	v_perm_b32 v36, v160, v158, s54                            // 0000000036B0: D1ED0024 00DB3DA0
	v_perm_b32 v37, v160, v158, s55                            // 0000000036B8: D1ED0025 00DF3DA0
	v_perm_b32 v218, v36, v34, s53                             // 0000000036C0: D1ED00DA 00D64524
	v_perm_b32 v219, v36, v34, s52                             // 0000000036C8: D1ED00DB 00D24524
	v_perm_b32 v220, v37, v35, s53                             // 0000000036D0: D1ED00DC 00D64725
	v_perm_b32 v221, v37, v35, s52                             // 0000000036D8: D1ED00DD 00D24725
	v_accvgpr_write_b32 a108, v218                             // 0000000036E0: D3D9406C 180001DA
	v_accvgpr_write_b32 a112, v219                             // 0000000036E8: D3D94070 180001DB
	v_accvgpr_write_b32 a116, v220                             // 0000000036F0: D3D94074 180001DC
	v_accvgpr_write_b32 a120, v221                             // 0000000036F8: D3D94078 180001DD
	v_perm_b32 v34, v157, v155, s54                            // 000000003700: D1ED0022 00DB379D
	v_perm_b32 v35, v157, v155, s55                            // 000000003708: D1ED0023 00DF379D
	v_perm_b32 v36, v161, v159, s54                            // 000000003710: D1ED0024 00DB3FA1
	v_perm_b32 v37, v161, v159, s55                            // 000000003718: D1ED0025 00DF3FA1
	v_perm_b32 v218, v36, v34, s53                             // 000000003720: D1ED00DA 00D64524
	v_perm_b32 v219, v36, v34, s52                             // 000000003728: D1ED00DB 00D24524
	v_perm_b32 v220, v37, v35, s53                             // 000000003730: D1ED00DC 00D64725
	v_perm_b32 v221, v37, v35, s52                             // 000000003738: D1ED00DD 00D24725
	v_accvgpr_write_b32 a124, v218                             // 000000003740: D3D9407C 180001DA
	v_accvgpr_write_b32 a128, v219                             // 000000003748: D3D94080 180001DB
	v_accvgpr_write_b32 a132, v220                             // 000000003750: D3D94084 180001DC
	v_accvgpr_write_b32 a136, v221                             // 000000003758: D3D94088 180001DD
	s_waitcnt lgkmcnt(0)                                       // 000000003760: BF8CC07F
	s_barrier                                                  // 000000003764: BF8A0000
	v_perm_b32 v34, v164, v162, s54                            // 000000003768: D1ED0022 00DB45A4
	v_perm_b32 v35, v164, v162, s55                            // 000000003770: D1ED0023 00DF45A4
	v_perm_b32 v36, v168, v166, s54                            // 000000003778: D1ED0024 00DB4DA8
	v_perm_b32 v37, v168, v166, s55                            // 000000003780: D1ED0025 00DF4DA8
	v_perm_b32 v218, v36, v34, s53                             // 000000003788: D1ED00DA 00D64524
	v_perm_b32 v219, v36, v34, s52                             // 000000003790: D1ED00DB 00D24524
	v_perm_b32 v220, v37, v35, s53                             // 000000003798: D1ED00DC 00D64725
	v_perm_b32 v221, v37, v35, s52                             // 0000000037A0: D1ED00DD 00D24725
	v_accvgpr_write_b32 a109, v218                             // 0000000037A8: D3D9406D 180001DA
	v_accvgpr_write_b32 a113, v219                             // 0000000037B0: D3D94071 180001DB
	v_accvgpr_write_b32 a117, v220                             // 0000000037B8: D3D94075 180001DC
	v_accvgpr_write_b32 a121, v221                             // 0000000037C0: D3D94079 180001DD
	ds_read_b32 v58, v4 offset:21120                           // 0000000037C8: D86C5280 3A000004
	buffer_load_dword v154, v42, s[20:23], 0 offen             // 0000000037D0: E0501000 80059A2A
	buffer_load_dword v155, v42, s[20:23], 0 offen offset:64   // 0000000037D8: E0501040 80059B2A
	ds_read_b32 v59, v4 offset:21184                           // 0000000037E0: D86C52C0 3B000004
	ds_read_b32 v60, v4 offset:21248                           // 0000000037E8: D86C5300 3C000004
	ds_read_b32 v61, v4 offset:21312                           // 0000000037F0: D86C5340 3D000004
	ds_read_b32 v62, v4 offset:21376                           // 0000000037F8: D86C5380 3E000004
	ds_read_b32 v63, v4 offset:21440                           // 000000003800: D86C53C0 3F000004
	ds_read_b32 v64, v4 offset:21504                           // 000000003808: D86C5400 40000004
	ds_read_b32 v65, v4 offset:21568                           // 000000003810: D86C5440 41000004
	ds_read_b32 v66, v4 offset:21632                           // 000000003818: D86C5480 42000004
	buffer_load_dword v156, v43, s[20:23], 0 offen             // 000000003820: E0501000 80059C2B
	buffer_load_dword v157, v43, s[20:23], 0 offen offset:64   // 000000003828: E0501040 80059D2B
	ds_read_b32 v67, v4 offset:21696                           // 000000003830: D86C54C0 43000004
	ds_read_b32 v68, v4 offset:21760                           // 000000003838: D86C5500 44000004
	ds_read_b32 v69, v4 offset:21824                           // 000000003840: D86C5540 45000004
	ds_read_b32 v70, v4 offset:21888                           // 000000003848: D86C5580 46000004
	ds_read_b32 v71, v4 offset:21952                           // 000000003850: D86C55C0 47000004
	ds_read_b32 v72, v4 offset:22016                           // 000000003858: D86C5600 48000004
	ds_read_b32 v73, v4 offset:22080                           // 000000003860: D86C5640 49000004
	buffer_load_dword v158, v44, s[20:23], 0 offen             // 000000003868: E0501000 80059E2C
	buffer_load_dword v159, v44, s[20:23], 0 offen offset:64   // 000000003870: E0501040 80059F2C
	v_perm_b32 v34, v165, v163, s54                            // 000000003878: D1ED0022 00DB47A5
	v_perm_b32 v35, v165, v163, s55                            // 000000003880: D1ED0023 00DF47A5
	v_perm_b32 v36, v169, v167, s54                            // 000000003888: D1ED0024 00DB4FA9
	v_perm_b32 v37, v169, v167, s55                            // 000000003890: D1ED0025 00DF4FA9
	v_perm_b32 v218, v36, v34, s53                             // 000000003898: D1ED00DA 00D64524
	v_perm_b32 v219, v36, v34, s52                             // 0000000038A0: D1ED00DB 00D24524
	v_perm_b32 v220, v37, v35, s53                             // 0000000038A8: D1ED00DC 00D64725
	v_perm_b32 v221, v37, v35, s52                             // 0000000038B0: D1ED00DD 00D24725
	v_accvgpr_write_b32 a125, v218                             // 0000000038B8: D3D9407D 180001DA
	v_accvgpr_write_b32 a129, v219                             // 0000000038C0: D3D94081 180001DB
	v_accvgpr_write_b32 a133, v220                             // 0000000038C8: D3D94085 180001DC
	v_accvgpr_write_b32 a137, v221                             // 0000000038D0: D3D94089 180001DD
	s_waitcnt lgkmcnt(0)                                       // 0000000038D8: BF8CC07F
	v_max3_f32 v8, v58, v59, v8                                // 0000000038DC: D1D30008 0422773A
	v_max3_f32 v8, v60, v61, v8                                // 0000000038E4: D1D30008 04227B3C
	v_max3_f32 v8, v62, v63, v8                                // 0000000038EC: D1D30008 04227F3E
	v_max3_f32 v8, v64, v65, v8                                // 0000000038F4: D1D30008 04228340
	v_max3_f32 v8, v66, v67, v8                                // 0000000038FC: D1D30008 04228742
	v_max3_f32 v8, v68, v69, v8                                // 000000003904: D1D30008 04228B44
	v_max3_f32 v8, v70, v71, v8                                // 00000000390C: D1D30008 04228F46
	v_max3_f32 v8, v72, v73, v8                                // 000000003914: D1D30008 04229348
	buffer_load_dword v160, v45, s[20:23], 0 offen             // 00000000391C: E0501000 8005A02D
	buffer_load_dword v161, v45, s[20:23], 0 offen offset:64   // 000000003924: E0501040 8005A12D
	v_cmp_eq_u32_e64 s[34:35], v11, v12                        // 00000000392C: D0CA0022 0002190B
	v_max_f32_e32 v14, v8, v12                                 // 000000003934: 161C1908
	v_sub_f32_e32 v20, v12, v14                                // 000000003938: 04281D0C
	v_cndmask_b32_e64 v20, v20, 0, s[34:35]                    // 00000000393C: D1000014 00890114
	v_mov_b32_e32 v12, v14                                     // 000000003944: 7E18030E
	v_mul_f32_e32 v9, s5, v14                                  // 000000003948: 0A121C05
	v_mul_f32_e32 v20, s5, v20                                 // 00000000394C: 0A282805
	v_exp_f32_e32 v20, v20                                     // 000000003950: 7E284114
	buffer_load_dword v162, v46, s[20:23], 0 offen             // 000000003954: E0501000 8005A22E
	buffer_load_dword v163, v46, s[20:23], 0 offen offset:64   // 00000000395C: E0501040 8005A32E
	v_fma_f32 v82, v82, s5, -v9                                // 000000003964: D1CB0052 84240B52
	v_fma_f32 v83, v83, s5, -v9                                // 00000000396C: D1CB0053 84240B53
	v_fma_f32 v84, v84, s5, -v9                                // 000000003974: D1CB0054 84240B54
	v_fma_f32 v85, v85, s5, -v9                                // 00000000397C: D1CB0055 84240B55
	v_exp_f32_e32 v82, v82                                     // 000000003984: 7EA44152
	v_exp_f32_e32 v83, v83                                     // 000000003988: 7EA64153
	v_exp_f32_e32 v84, v84                                     // 00000000398C: 7EA84154
	v_exp_f32_e32 v85, v85                                     // 000000003990: 7EAA4155
	buffer_load_dword v164, v47, s[20:23], 0 offen             // 000000003994: E0501000 8005A42F
	buffer_load_dword v165, v47, s[20:23], 0 offen offset:64   // 00000000399C: E0501040 8005A52F
	v_mul_f32_e32 v15, v20, v15                                // 0000000039A4: 0A1E1F14
	v_mov_b32_e32 v17, v82                                     // 0000000039A8: 7E220352
	v_add_f32_e32 v17, v83, v17                                // 0000000039AC: 02222353
	v_add_f32_e32 v17, v84, v17                                // 0000000039B0: 02222354
	v_add_f32_e32 v17, v85, v17                                // 0000000039B4: 02222355
	v_add_f32_e32 v15, v17, v15                                // 0000000039B8: 021E1F11
	buffer_load_dword v166, v48, s[20:23], 0 offen             // 0000000039BC: E0501000 8005A630
	buffer_load_dword v167, v48, s[20:23], 0 offen offset:64   // 0000000039C4: E0501040 8005A730
	v_cvt_pk_fp8_f32 v82, v82, v83                             // 0000000039CC: D2A20052 0002A752
	v_cvt_pk_fp8_f32 v82, v84, v85 op_sel:[0,0,1]              // 0000000039D4: D2A24052 0002AB54
	ds_write_b32 v7, v82                                       // 0000000039DC: D81A0000 00005207
	buffer_load_dword v168, v49, s[20:23], 0 offen             // 0000000039E4: E0501000 8005A831
	buffer_load_dword v169, v49, s[20:23], 0 offen offset:64   // 0000000039EC: E0501040 8005A931
	s_waitcnt lgkmcnt(0)                                       // 0000000039F4: BF8CC07F
	s_barrier                                                  // 0000000039F8: BF8A0000
	ds_read_b64 v[82:83], v6                                   // 0000000039FC: D8EC0000 52000006
	ds_read_b64 v[84:85], v6 offset:32                         // 000000003A04: D8EC0020 54000006
	v_mov_b32_e32 v34, v20                                     // 000000003A0C: 7E440314
	v_mov_b32_e32 v35, v20                                     // 000000003A10: 7E460314
	v_pk_mul_f32 v[90:91], v[34:35], v[90:91]                  // 000000003A14: D3B1405A 1802B522
	v_pk_mul_f32 v[92:93], v[34:35], v[92:93]                  // 000000003A1C: D3B1405C 1802B922
	v_pk_mul_f32 v[94:95], v[34:35], v[94:95]                  // 000000003A24: D3B1405E 1802BD22
	v_pk_mul_f32 v[96:97], v[34:35], v[96:97]                  // 000000003A2C: D3B14060 1802C122
	v_pk_mul_f32 v[98:99], v[34:35], v[98:99]                  // 000000003A34: D3B14062 1802C522
	v_pk_mul_f32 v[100:101], v[34:35], v[100:101]              // 000000003A3C: D3B14064 1802C922
	v_pk_mul_f32 v[102:103], v[34:35], v[102:103]              // 000000003A44: D3B14066 1802CD22
	v_pk_mul_f32 v[104:105], v[34:35], v[104:105]              // 000000003A4C: D3B14068 1802D122
	v_pk_mul_f32 v[106:107], v[34:35], v[106:107]              // 000000003A54: D3B1406A 1802D522
	v_pk_mul_f32 v[108:109], v[34:35], v[108:109]              // 000000003A5C: D3B1406C 1802D922
	v_pk_mul_f32 v[110:111], v[34:35], v[110:111]              // 000000003A64: D3B1406E 1802DD22
	v_pk_mul_f32 v[112:113], v[34:35], v[112:113]              // 000000003A6C: D3B14070 1802E122
	v_pk_mul_f32 v[114:115], v[34:35], v[114:115]              // 000000003A74: D3B14072 1802E522
	v_pk_mul_f32 v[116:117], v[34:35], v[116:117]              // 000000003A7C: D3B14074 1802E922
	v_pk_mul_f32 v[118:119], v[34:35], v[118:119]              // 000000003A84: D3B14076 1802ED22
	v_pk_mul_f32 v[120:121], v[34:35], v[120:121]              // 000000003A8C: D3B14078 1802F122
	s_waitcnt lgkmcnt(0)                                       // 000000003A94: BF8CC07F
	s_cmp_le_i32 s83, s82                                      // 000000003A98: BF055253
	s_cbranch_scc1 label_060B                                  // 000000003A9C: BF850023
	s_add_u32 s57, s82, 1                                      // 000000003AA0: 80398152
	v_mov_b32_e32 v38, s57                                     // 000000003AA4: 7E4C0239
	s_sub_u32 s56, s83, 63                                     // 000000003AA8: 80B8BF53
	s_mul_i32 s57, s7, 16                                      // 000000003AAC: 92399007
	v_lshrrev_b32_e32 v47, 4, v0                               // 000000003AB0: 205E0084
	v_mul_i32_i24_e32 v47, 4, v47                              // 000000003AB4: 0C5E5E84
	v_add_u32_e32 v47, s56, v47                                // 000000003AB8: 685E5E38
	v_add_u32_e32 v47, s57, v47                                // 000000003ABC: 685E5E39
	v_add_u32_e32 v48, 1, v47                                  // 000000003AC0: 68605E81
	v_add_u32_e32 v49, 2, v47                                  // 000000003AC4: 68625E82
	v_add_u32_e32 v50, 3, v47                                  // 000000003AC8: 68645E83
	v_cmp_le_u32_e64 s[34:35], v47, v38                        // 000000003ACC: D0CB0022 00024D2F
	v_add_u32_e32 v47, 64, v47                                 // 000000003AD4: 685E5EC0
	s_nop 0                                                    // 000000003AD8: BF800000
	v_cndmask_b32_e64 v86, v11, v86, s[34:35]                  // 000000003ADC: D1000056 008AAD0B
	v_cmp_le_u32_e64 s[34:35], v48, v38                        // 000000003AE4: D0CB0022 00024D30
	v_add_u32_e32 v48, 64, v48                                 // 000000003AEC: 686060C0
	s_nop 0                                                    // 000000003AF0: BF800000
	v_cndmask_b32_e64 v87, v11, v87, s[34:35]                  // 000000003AF4: D1000057 008AAF0B
	v_cmp_le_u32_e64 s[34:35], v49, v38                        // 000000003AFC: D0CB0022 00024D31
	v_add_u32_e32 v49, 64, v49                                 // 000000003B04: 686262C0
	s_nop 0                                                    // 000000003B08: BF800000
	v_cndmask_b32_e64 v88, v11, v88, s[34:35]                  // 000000003B0C: D1000058 008AB10B
	v_cmp_le_u32_e64 s[34:35], v50, v38                        // 000000003B14: D0CB0022 00024D32
	v_add_u32_e32 v50, 64, v50                                 // 000000003B1C: 686464C0
	s_nop 0                                                    // 000000003B20: BF800000
	v_cndmask_b32_e64 v89, v11, v89, s[34:35]                  // 000000003B24: D1000059 008AB30B

0000000000003b2c <label_060B>:
	s_add_u32 s83, s84, s83                                    // 000000003B2C: 80535354
	v_mov_b32_e32 v8, v86                                      // 000000003B30: 7E100356
	v_max3_f32 v8, v86, v87, v8                                // 000000003B34: D1D30008 0422AF56
	v_max3_f32 v8, v88, v89, v8                                // 000000003B3C: D1D30008 0422B358
	ds_write_b32 v5, v8 offset:21120                           // 000000003B44: D81A5280 00000805
	v_perm_b32 v34, v172, v170, s54                            // 000000003B4C: D1ED0022 00DB55AC
	v_perm_b32 v35, v172, v170, s55                            // 000000003B54: D1ED0023 00DF55AC
	v_perm_b32 v36, v176, v174, s54                            // 000000003B5C: D1ED0024 00DB5DB0
	v_perm_b32 v37, v176, v174, s55                            // 000000003B64: D1ED0025 00DF5DB0
	v_perm_b32 v218, v36, v34, s53                             // 000000003B6C: D1ED00DA 00D64524
	v_perm_b32 v219, v36, v34, s52                             // 000000003B74: D1ED00DB 00D24524
	v_perm_b32 v220, v37, v35, s53                             // 000000003B7C: D1ED00DC 00D64725
	v_perm_b32 v221, v37, v35, s52                             // 000000003B84: D1ED00DD 00D24725
	v_accvgpr_write_b32 a110, v218                             // 000000003B8C: D3D9406E 180001DA
	v_accvgpr_write_b32 a114, v219                             // 000000003B94: D3D94072 180001DB
	v_accvgpr_write_b32 a118, v220                             // 000000003B9C: D3D94076 180001DC
	v_accvgpr_write_b32 a122, v221                             // 000000003BA4: D3D9407A 180001DD
	v_perm_b32 v34, v173, v171, s54                            // 000000003BAC: D1ED0022 00DB57AD
	v_perm_b32 v35, v173, v171, s55                            // 000000003BB4: D1ED0023 00DF57AD
	v_perm_b32 v36, v177, v175, s54                            // 000000003BBC: D1ED0024 00DB5FB1
	v_perm_b32 v37, v177, v175, s55                            // 000000003BC4: D1ED0025 00DF5FB1
	v_perm_b32 v218, v36, v34, s53                             // 000000003BCC: D1ED00DA 00D64524
	v_perm_b32 v219, v36, v34, s52                             // 000000003BD4: D1ED00DB 00D24524
	v_perm_b32 v220, v37, v35, s53                             // 000000003BDC: D1ED00DC 00D64725
	v_perm_b32 v221, v37, v35, s52                             // 000000003BE4: D1ED00DD 00D24725
	v_accvgpr_write_b32 a126, v218                             // 000000003BEC: D3D9407E 180001DA
	v_accvgpr_write_b32 a130, v219                             // 000000003BF4: D3D94082 180001DB
	v_accvgpr_write_b32 a134, v220                             // 000000003BFC: D3D94086 180001DC
	v_accvgpr_write_b32 a138, v221                             // 000000003C04: D3D9408A 180001DD
	s_waitcnt lgkmcnt(0)                                       // 000000003C0C: BF8CC07F
	s_barrier                                                  // 000000003C10: BF8A0000
	v_perm_b32 v34, v180, v178, s54                            // 000000003C14: D1ED0022 00DB65B4
	v_perm_b32 v35, v180, v178, s55                            // 000000003C1C: D1ED0023 00DF65B4
	v_perm_b32 v36, v184, v182, s54                            // 000000003C24: D1ED0024 00DB6DB8
	v_perm_b32 v37, v184, v182, s55                            // 000000003C2C: D1ED0025 00DF6DB8
	v_perm_b32 v218, v36, v34, s53                             // 000000003C34: D1ED00DA 00D64524
	v_perm_b32 v219, v36, v34, s52                             // 000000003C3C: D1ED00DB 00D24524
	v_perm_b32 v220, v37, v35, s53                             // 000000003C44: D1ED00DC 00D64725
	v_perm_b32 v221, v37, v35, s52                             // 000000003C4C: D1ED00DD 00D24725
	v_accvgpr_write_b32 a111, v218                             // 000000003C54: D3D9406F 180001DA
	v_accvgpr_write_b32 a115, v219                             // 000000003C5C: D3D94073 180001DB
	v_accvgpr_write_b32 a119, v220                             // 000000003C64: D3D94077 180001DC
	v_accvgpr_write_b32 a123, v221                             // 000000003C6C: D3D9407B 180001DD
	ds_read_b32 v58, v4 offset:21120                           // 000000003C74: D86C5280 3A000004
	buffer_load_dword v170, v50, s[20:23], 0 offen             // 000000003C7C: E0501000 8005AA32
	buffer_load_dword v171, v50, s[20:23], 0 offen offset:64   // 000000003C84: E0501040 8005AB32
	ds_read_b32 v59, v4 offset:21184                           // 000000003C8C: D86C52C0 3B000004
	ds_read_b32 v60, v4 offset:21248                           // 000000003C94: D86C5300 3C000004
	ds_read_b32 v61, v4 offset:21312                           // 000000003C9C: D86C5340 3D000004
	ds_read_b32 v62, v4 offset:21376                           // 000000003CA4: D86C5380 3E000004
	ds_read_b32 v63, v4 offset:21440                           // 000000003CAC: D86C53C0 3F000004
	ds_read_b32 v64, v4 offset:21504                           // 000000003CB4: D86C5400 40000004
	ds_read_b32 v65, v4 offset:21568                           // 000000003CBC: D86C5440 41000004
	ds_read_b32 v66, v4 offset:21632                           // 000000003CC4: D86C5480 42000004
	buffer_load_dword v172, v51, s[20:23], 0 offen             // 000000003CCC: E0501000 8005AC33
	buffer_load_dword v173, v51, s[20:23], 0 offen offset:64   // 000000003CD4: E0501040 8005AD33
	ds_read_b32 v67, v4 offset:21696                           // 000000003CDC: D86C54C0 43000004
	ds_read_b32 v68, v4 offset:21760                           // 000000003CE4: D86C5500 44000004
	ds_read_b32 v69, v4 offset:21824                           // 000000003CEC: D86C5540 45000004
	ds_read_b32 v70, v4 offset:21888                           // 000000003CF4: D86C5580 46000004
	ds_read_b32 v71, v4 offset:21952                           // 000000003CFC: D86C55C0 47000004
	ds_read_b32 v72, v4 offset:22016                           // 000000003D04: D86C5600 48000004
	ds_read_b32 v73, v4 offset:22080                           // 000000003D0C: D86C5640 49000004
	buffer_load_dword v174, v52, s[20:23], 0 offen             // 000000003D14: E0501000 8005AE34
	buffer_load_dword v175, v52, s[20:23], 0 offen offset:64   // 000000003D1C: E0501040 8005AF34
	v_perm_b32 v34, v181, v179, s54                            // 000000003D24: D1ED0022 00DB67B5
	v_perm_b32 v35, v181, v179, s55                            // 000000003D2C: D1ED0023 00DF67B5
	v_perm_b32 v36, v185, v183, s54                            // 000000003D34: D1ED0024 00DB6FB9
	v_perm_b32 v37, v185, v183, s55                            // 000000003D3C: D1ED0025 00DF6FB9
	v_perm_b32 v218, v36, v34, s53                             // 000000003D44: D1ED00DA 00D64524
	v_perm_b32 v219, v36, v34, s52                             // 000000003D4C: D1ED00DB 00D24524
	v_perm_b32 v220, v37, v35, s53                             // 000000003D54: D1ED00DC 00D64725
	v_perm_b32 v221, v37, v35, s52                             // 000000003D5C: D1ED00DD 00D24725
	v_accvgpr_write_b32 a127, v218                             // 000000003D64: D3D9407F 180001DA
	v_accvgpr_write_b32 a131, v219                             // 000000003D6C: D3D94083 180001DB
	v_accvgpr_write_b32 a135, v220                             // 000000003D74: D3D94087 180001DC
	v_accvgpr_write_b32 a139, v221                             // 000000003D7C: D3D9408B 180001DD
	s_waitcnt lgkmcnt(0)                                       // 000000003D84: BF8CC07F
	v_max3_f32 v8, v58, v59, v8                                // 000000003D88: D1D30008 0422773A
	v_max3_f32 v8, v60, v61, v8                                // 000000003D90: D1D30008 04227B3C
	v_max3_f32 v8, v62, v63, v8                                // 000000003D98: D1D30008 04227F3E
	v_max3_f32 v8, v64, v65, v8                                // 000000003DA0: D1D30008 04228340
	v_max3_f32 v8, v66, v67, v8                                // 000000003DA8: D1D30008 04228742
	v_max3_f32 v8, v68, v69, v8                                // 000000003DB0: D1D30008 04228B44
	v_max3_f32 v8, v70, v71, v8                                // 000000003DB8: D1D30008 04228F46
	v_max3_f32 v8, v72, v73, v8                                // 000000003DC0: D1D30008 04229348
	buffer_load_dword v176, v53, s[20:23], 0 offen             // 000000003DC8: E0501000 8005B035
	buffer_load_dword v177, v53, s[20:23], 0 offen offset:64   // 000000003DD0: E0501040 8005B135
	v_cmp_eq_u32_e64 s[34:35], v11, v13                        // 000000003DD8: D0CA0022 00021B0B
	v_max_f32_e32 v14, v8, v13                                 // 000000003DE0: 161C1B08
	v_sub_f32_e32 v21, v13, v14                                // 000000003DE4: 042A1D0D
	v_cndmask_b32_e64 v21, v21, 0, s[34:35]                    // 000000003DE8: D1000015 00890115
	v_mov_b32_e32 v13, v14                                     // 000000003DF0: 7E1A030E
	v_mul_f32_e32 v9, s5, v14                                  // 000000003DF4: 0A121C05
	v_mul_f32_e32 v21, s5, v21                                 // 000000003DF8: 0A2A2A05
	v_exp_f32_e32 v21, v21                                     // 000000003DFC: 7E2A4115
	buffer_load_dword v178, v54, s[20:23], 0 offen             // 000000003E00: E0501000 8005B236
	buffer_load_dword v179, v54, s[20:23], 0 offen offset:64   // 000000003E08: E0501040 8005B336
	v_fma_f32 v86, v86, s5, -v9                                // 000000003E10: D1CB0056 84240B56
	v_fma_f32 v87, v87, s5, -v9                                // 000000003E18: D1CB0057 84240B57
	v_fma_f32 v88, v88, s5, -v9                                // 000000003E20: D1CB0058 84240B58
	v_fma_f32 v89, v89, s5, -v9                                // 000000003E28: D1CB0059 84240B59
	v_exp_f32_e32 v86, v86                                     // 000000003E30: 7EAC4156
	v_exp_f32_e32 v87, v87                                     // 000000003E34: 7EAE4157
	v_exp_f32_e32 v88, v88                                     // 000000003E38: 7EB04158
	v_exp_f32_e32 v89, v89                                     // 000000003E3C: 7EB24159
	buffer_load_dword v180, v55, s[20:23], 0 offen             // 000000003E40: E0501000 8005B437
	buffer_load_dword v181, v55, s[20:23], 0 offen offset:64   // 000000003E48: E0501040 8005B537
	v_mul_f32_e32 v16, v21, v16                                // 000000003E50: 0A202115
	v_mov_b32_e32 v17, v86                                     // 000000003E54: 7E220356
	v_add_f32_e32 v17, v87, v17                                // 000000003E58: 02222357
	v_add_f32_e32 v17, v88, v17                                // 000000003E5C: 02222358
	v_add_f32_e32 v17, v89, v17                                // 000000003E60: 02222359
	v_add_f32_e32 v16, v17, v16                                // 000000003E64: 02202111
	buffer_load_dword v182, v56, s[20:23], 0 offen             // 000000003E68: E0501000 8005B638
	buffer_load_dword v183, v56, s[20:23], 0 offen offset:64   // 000000003E70: E0501040 8005B738
	v_cvt_pk_fp8_f32 v86, v86, v87                             // 000000003E78: D2A20056 0002AF56
	v_cvt_pk_fp8_f32 v86, v88, v89 op_sel:[0,0,1]              // 000000003E80: D2A24056 0002B358
	ds_write_b32 v7, v86                                       // 000000003E88: D81A0000 00005607
	buffer_load_dword v184, v57, s[20:23], 0 offen             // 000000003E90: E0501000 8005B839
	buffer_load_dword v185, v57, s[20:23], 0 offen offset:64   // 000000003E98: E0501040 8005B939
	v_mov_b32_e32 v34, v21                                     // 000000003EA0: 7E440315
	v_mov_b32_e32 v35, v21                                     // 000000003EA4: 7E460315
	v_pk_mul_f32 v[122:123], v[34:35], v[122:123]              // 000000003EA8: D3B1407A 1802F522
	v_pk_mul_f32 v[124:125], v[34:35], v[124:125]              // 000000003EB0: D3B1407C 1802F922
	v_pk_mul_f32 v[126:127], v[34:35], v[126:127]              // 000000003EB8: D3B1407E 1802FD22
	v_pk_mul_f32 v[128:129], v[34:35], v[128:129]              // 000000003EC0: D3B14080 18030122
	v_pk_mul_f32 v[130:131], v[34:35], v[130:131]              // 000000003EC8: D3B14082 18030522
	v_pk_mul_f32 v[132:133], v[34:35], v[132:133]              // 000000003ED0: D3B14084 18030922
	v_pk_mul_f32 v[134:135], v[34:35], v[134:135]              // 000000003ED8: D3B14086 18030D22
	v_pk_mul_f32 v[136:137], v[34:35], v[136:137]              // 000000003EE0: D3B14088 18031122
	v_pk_mul_f32 v[138:139], v[34:35], v[138:139]              // 000000003EE8: D3B1408A 18031522
	v_pk_mul_f32 v[140:141], v[34:35], v[140:141]              // 000000003EF0: D3B1408C 18031922
	v_pk_mul_f32 v[142:143], v[34:35], v[142:143]              // 000000003EF8: D3B1408E 18031D22
	v_pk_mul_f32 v[144:145], v[34:35], v[144:145]              // 000000003F00: D3B14090 18032122
	v_pk_mul_f32 v[146:147], v[34:35], v[146:147]              // 000000003F08: D3B14092 18032522
	v_pk_mul_f32 v[148:149], v[34:35], v[148:149]              // 000000003F10: D3B14094 18032922
	v_pk_mul_f32 v[150:151], v[34:35], v[150:151]              // 000000003F18: D3B14096 18032D22
	v_pk_mul_f32 v[152:153], v[34:35], v[152:153]              // 000000003F20: D3B14098 18033122
	s_waitcnt lgkmcnt(0)                                       // 000000003F28: BF8CC07F
	s_barrier                                                  // 000000003F2C: BF8A0000
	ds_read_b64 v[86:87], v6                                   // 000000003F30: D8EC0000 56000006
	ds_read_b64 v[88:89], v6 offset:32                         // 000000003F38: D8EC0020 58000006
	v_mul_u32_u24_dpp v42, v27, v10 row_newbcast:0 row_mask:0xf bank_mask:0xf// 000000003F40: 105414FA FF01501B
	v_mul_u32_u24_dpp v43, v27, v10 row_newbcast:1 row_mask:0xf bank_mask:0xf// 000000003F48: 105614FA FF01511B
	v_mul_u32_u24_dpp v44, v27, v10 row_newbcast:2 row_mask:0xf bank_mask:0xf// 000000003F50: 105814FA FF01521B
	v_mul_u32_u24_dpp v45, v27, v10 row_newbcast:3 row_mask:0xf bank_mask:0xf// 000000003F58: 105A14FA FF01531B
	v_mul_u32_u24_dpp v46, v27, v10 row_newbcast:4 row_mask:0xf bank_mask:0xf// 000000003F60: 105C14FA FF01541B
	v_mul_u32_u24_dpp v47, v27, v10 row_newbcast:5 row_mask:0xf bank_mask:0xf// 000000003F68: 105E14FA FF01551B
	v_mul_u32_u24_dpp v48, v27, v10 row_newbcast:6 row_mask:0xf bank_mask:0xf// 000000003F70: 106014FA FF01561B
	v_mul_u32_u24_dpp v49, v27, v10 row_newbcast:7 row_mask:0xf bank_mask:0xf// 000000003F78: 106214FA FF01571B
	v_mul_u32_u24_dpp v50, v27, v10 row_newbcast:8 row_mask:0xf bank_mask:0xf// 000000003F80: 106414FA FF01581B
	v_mul_u32_u24_dpp v51, v27, v10 row_newbcast:9 row_mask:0xf bank_mask:0xf// 000000003F88: 106614FA FF01591B
	v_mul_u32_u24_dpp v52, v27, v10 row_newbcast:10 row_mask:0xf bank_mask:0xf// 000000003F90: 106814FA FF015A1B
	v_mul_u32_u24_dpp v53, v27, v10 row_newbcast:11 row_mask:0xf bank_mask:0xf// 000000003F98: 106A14FA FF015B1B
	v_mul_u32_u24_dpp v54, v27, v10 row_newbcast:12 row_mask:0xf bank_mask:0xf// 000000003FA0: 106C14FA FF015C1B
	v_mul_u32_u24_dpp v55, v27, v10 row_newbcast:13 row_mask:0xf bank_mask:0xf// 000000003FA8: 106E14FA FF015D1B
	v_mul_u32_u24_dpp v56, v27, v10 row_newbcast:14 row_mask:0xf bank_mask:0xf// 000000003FB0: 107014FA FF015E1B
	v_mul_u32_u24_dpp v57, v27, v10 row_newbcast:15 row_mask:0xf bank_mask:0xf// 000000003FB8: 107214FA FF015F1B
	v_add_u32_dpp v42, v29, v42 row_newbcast:0 row_mask:0xf bank_mask:0xf// 000000003FC0: 685454FA FF01501D
	v_add_u32_dpp v43, v29, v43 row_newbcast:1 row_mask:0xf bank_mask:0xf// 000000003FC8: 685656FA FF01511D
	v_add_u32_dpp v44, v29, v44 row_newbcast:2 row_mask:0xf bank_mask:0xf// 000000003FD0: 685858FA FF01521D
	v_add_u32_dpp v45, v29, v45 row_newbcast:3 row_mask:0xf bank_mask:0xf// 000000003FD8: 685A5AFA FF01531D
	v_add_u32_dpp v46, v29, v46 row_newbcast:4 row_mask:0xf bank_mask:0xf// 000000003FE0: 685C5CFA FF01541D
	v_add_u32_dpp v47, v29, v47 row_newbcast:5 row_mask:0xf bank_mask:0xf// 000000003FE8: 685E5EFA FF01551D
	v_add_u32_dpp v48, v29, v48 row_newbcast:6 row_mask:0xf bank_mask:0xf// 000000003FF0: 686060FA FF01561D
	v_add_u32_dpp v49, v29, v49 row_newbcast:7 row_mask:0xf bank_mask:0xf// 000000003FF8: 686262FA FF01571D
	v_add_u32_dpp v50, v29, v50 row_newbcast:8 row_mask:0xf bank_mask:0xf// 000000004000: 686464FA FF01581D
	v_add_u32_dpp v51, v29, v51 row_newbcast:9 row_mask:0xf bank_mask:0xf// 000000004008: 686666FA FF01591D
	v_add_u32_dpp v52, v29, v52 row_newbcast:10 row_mask:0xf bank_mask:0xf// 000000004010: 686868FA FF015A1D
	v_add_u32_dpp v53, v29, v53 row_newbcast:11 row_mask:0xf bank_mask:0xf// 000000004018: 686A6AFA FF015B1D
	v_add_u32_dpp v54, v29, v54 row_newbcast:12 row_mask:0xf bank_mask:0xf// 000000004020: 686C6CFA FF015C1D
	v_add_u32_dpp v55, v29, v55 row_newbcast:13 row_mask:0xf bank_mask:0xf// 000000004028: 686E6EFA FF015D1D
	v_add_u32_dpp v56, v29, v56 row_newbcast:14 row_mask:0xf bank_mask:0xf// 000000004030: 687070FA FF015E1D
	v_add_u32_dpp v57, v29, v57 row_newbcast:15 row_mask:0xf bank_mask:0xf// 000000004038: 687272FA FF015F1D
	s_mov_b32 s56, m0                                          // 000000004040: BEB8007C
	s_set_gpr_idx_on s51, gpr_idx(SRC0)                        // 000000004044: BF110133
	v_add_u32_e32 v38, v42, v3                                 // 000000004048: 684C072A
	v_add_u32_e32 v39, v43, v3                                 // 00000000404C: 684E072B
	v_add_u32_e32 v40, v44, v3                                 // 000000004050: 6850072C
	v_add_u32_e32 v41, v45, v3                                 // 000000004054: 6852072D
	s_set_gpr_idx_off                                          // 000000004058: BF9C0000
	s_mov_b32 m0, s56                                          // 00000000405C: BEFC0038
	v_add_u32_e32 v42, v42, v2                                 // 000000004060: 6854052A
	v_add_u32_e32 v43, v43, v2                                 // 000000004064: 6856052B
	v_add_u32_e32 v44, v44, v2                                 // 000000004068: 6858052C
	v_add_u32_e32 v45, v45, v2                                 // 00000000406C: 685A052D
	v_add_u32_e32 v46, v46, v2                                 // 000000004070: 685C052E
	v_add_u32_e32 v47, v47, v2                                 // 000000004074: 685E052F
	v_add_u32_e32 v48, v48, v2                                 // 000000004078: 68600530
	v_add_u32_e32 v49, v49, v2                                 // 00000000407C: 68620531
	v_add_u32_e32 v50, v50, v2                                 // 000000004080: 68640532
	v_add_u32_e32 v51, v51, v2                                 // 000000004084: 68660533
	;; [unrolled: 1-line block ×3, first 2 shown]
	v_add_u32_e32 v53, v53, v2                                 // 00000000408C: 686A0535
	v_add_u32_e32 v54, v54, v2                                 // 000000004090: 686C0536
	v_add_u32_e32 v55, v55, v2                                 // 000000004094: 686E0537
	v_add_u32_e32 v56, v56, v2                                 // 000000004098: 68700538
	v_add_u32_e32 v57, v57, v2                                 // 00000000409C: 68720539
	s_waitcnt lgkmcnt(0)                                       // 0000000040A0: BF8CC07F
	s_waitcnt vmcnt(37)                                        // 0000000040A4: BF8C8F75
	v_mfma_f32_16x16x32_fp8_fp8 v[90:93], a[108:109], v[82:83], v[90:93]// 0000000040A8: D3F3005A 0D6AA56C
	v_mfma_f32_16x16x32_fp8_fp8 v[90:93], a[110:111], v[84:85], v[90:93]// 0000000040B0: D3F3005A 0D6AA96E
	ds_write_b32 v22, v202                                     // 0000000040B8: D81A0000 0000CA16
	ds_write_b32 v22, v203 offset:64                           // 0000000040C0: D81A0040 0000CB16
	v_mfma_f32_16x16x32_fp8_fp8 v[94:97], a[112:113], v[82:83], v[94:97]// 0000000040C8: D3F3005E 0D7AA570
	v_mfma_f32_16x16x32_fp8_fp8 v[94:97], a[114:115], v[84:85], v[94:97]// 0000000040D0: D3F3005E 0D7AA972
	ds_write_b32 v22, v204 offset:4128                         // 0000000040D8: D81A1020 0000CC16
	ds_write_b32 v22, v205 offset:4192                         // 0000000040E0: D81A1060 0000CD16
	v_mfma_f32_16x16x32_fp8_fp8 v[98:101], a[116:117], v[82:83], v[98:101]// 0000000040E8: D3F30062 0D8AA574
	v_mfma_f32_16x16x32_fp8_fp8 v[98:101], a[118:119], v[84:85], v[98:101]// 0000000040F0: D3F30062 0D8AA976
	ds_write_b32 v22, v206 offset:8256                         // 0000000040F8: D81A2040 0000CE16
	ds_write_b32 v22, v207 offset:8320                         // 000000004100: D81A2080 0000CF16
	v_mfma_f32_16x16x32_fp8_fp8 v[102:105], a[120:121], v[82:83], v[102:105]// 000000004108: D3F30066 0D9AA578
	v_mfma_f32_16x16x32_fp8_fp8 v[102:105], a[122:123], v[84:85], v[102:105]// 000000004110: D3F30066 0D9AA97A
	ds_write_b32 v22, v208 offset:12384                        // 000000004118: D81A3060 0000D016
	ds_write_b32 v22, v209 offset:12448                        // 000000004120: D81A30A0 0000D116
	v_mfma_f32_16x16x32_fp8_fp8 v[106:109], a[124:125], v[82:83], v[106:109]// 000000004128: D3F3006A 0DAAA57C
	v_mfma_f32_16x16x32_fp8_fp8 v[106:109], a[126:127], v[84:85], v[106:109]// 000000004130: D3F3006A 0DAAA97E
	ds_write_b32 v22, v210 offset:512                          // 000000004138: D81A0200 0000D216
	ds_write_b32 v22, v211 offset:576                          // 000000004140: D81A0240 0000D316
	v_mfma_f32_16x16x32_fp8_fp8 v[110:113], a[128:129], v[82:83], v[110:113]// 000000004148: D3F3006E 0DBAA580
	v_mfma_f32_16x16x32_fp8_fp8 v[110:113], a[130:131], v[84:85], v[110:113]// 000000004150: D3F3006E 0DBAA982
	ds_write_b32 v22, v212 offset:4640                         // 000000004158: D81A1220 0000D416
	ds_write_b32 v22, v213 offset:4704                         // 000000004160: D81A1260 0000D516
	v_mfma_f32_16x16x32_fp8_fp8 v[114:117], a[132:133], v[82:83], v[114:117]// 000000004168: D3F30072 0DCAA584
	v_mfma_f32_16x16x32_fp8_fp8 v[114:117], a[134:135], v[84:85], v[114:117]// 000000004170: D3F30072 0DCAA986
	ds_write_b32 v22, v214 offset:8768                         // 000000004178: D81A2240 0000D616
	ds_write_b32 v22, v215 offset:8832                         // 000000004180: D81A2280 0000D716
	v_mfma_f32_16x16x32_fp8_fp8 v[118:121], a[136:137], v[82:83], v[118:121]// 000000004188: D3F30076 0DDAA588
	v_mfma_f32_16x16x32_fp8_fp8 v[118:121], a[138:139], v[84:85], v[118:121]// 000000004190: D3F30076 0DDAA98A
	ds_write_b32 v22, v216 offset:12896                        // 000000004198: D81A3260 0000D816
	ds_write_b32 v22, v217 offset:12960                        // 0000000041A0: D81A32A0 0000D916
	ds_read_b64 a[104:105], v25 offset:16512                   // 0000000041A8: DAEC4080 68000019
	ds_read_b64 a[106:107], v25 offset:16520                   // 0000000041B0: DAEC4088 6A000019
	v_mfma_f32_16x16x32_fp8_fp8 v[122:125], a[108:109], v[86:87], v[122:125]// 0000000041B8: D3F3007A 0DEAAD6C
	v_mfma_f32_16x16x32_fp8_fp8 v[122:125], a[110:111], v[88:89], v[122:125]// 0000000041C0: D3F3007A 0DEAB16E
	s_waitcnt lgkmcnt(4)                                       // 0000000041C8: BF8CC47F
	s_barrier                                                  // 0000000041CC: BF8A0000
	v_mfma_f32_16x16x32_fp8_fp8 v[126:129], a[112:113], v[86:87], v[126:129]// 0000000041D0: D3F3007E 0DFAAD70
	v_mfma_f32_16x16x32_fp8_fp8 v[126:129], a[114:115], v[88:89], v[126:129]// 0000000041D8: D3F3007E 0DFAB172
	v_mfma_f32_16x16x32_fp8_fp8 v[130:133], a[116:117], v[86:87], v[130:133]// 0000000041E0: D3F30082 0E0AAD74
	v_mfma_f32_16x16x32_fp8_fp8 v[130:133], a[118:119], v[88:89], v[130:133]// 0000000041E8: D3F30082 0E0AB176
	v_mfma_f32_16x16x32_fp8_fp8 v[134:137], a[120:121], v[86:87], v[134:137]// 0000000041F0: D3F30086 0E1AAD78
	v_mfma_f32_16x16x32_fp8_fp8 v[134:137], a[122:123], v[88:89], v[134:137]// 0000000041F8: D3F30086 0E1AB17A
	v_mfma_f32_16x16x32_fp8_fp8 v[138:141], a[124:125], v[86:87], v[138:141]// 000000004200: D3F3008A 0E2AAD7C
	v_mfma_f32_16x16x32_fp8_fp8 v[138:141], a[126:127], v[88:89], v[138:141]// 000000004208: D3F3008A 0E2AB17E
	v_mfma_f32_16x16x32_fp8_fp8 v[142:145], a[128:129], v[86:87], v[142:145]// 000000004210: D3F3008E 0E3AAD80
	v_mfma_f32_16x16x32_fp8_fp8 v[142:145], a[130:131], v[88:89], v[142:145]// 000000004218: D3F3008E 0E3AB182
	v_mfma_f32_16x16x32_fp8_fp8 v[146:149], a[132:133], v[86:87], v[146:149]// 000000004220: D3F30092 0E4AAD84
	v_mfma_f32_16x16x32_fp8_fp8 v[146:149], a[134:135], v[88:89], v[146:149]// 000000004228: D3F30092 0E4AB186
	v_mfma_f32_16x16x32_fp8_fp8 v[150:153], a[136:137], v[86:87], v[150:153]// 000000004230: D3F30096 0E5AAD88
	v_mfma_f32_16x16x32_fp8_fp8 v[150:153], a[138:139], v[88:89], v[150:153]// 000000004238: D3F30096 0E5AB18A
	s_addk_i32 s70, 0x1                                        // 000000004240: B7460001
	s_cmp_lt_i32 s70, s71                                      // 000000004244: BF044746
	s_cbranch_scc0 label_0B7A                                  // 000000004248: BF8403A7
	s_waitcnt vmcnt(16) lgkmcnt(0)                             // 00000000424C: BF8C4070
	s_barrier                                                  // 000000004250: BF8A0000
	v_mfma_f32_16x16x32_fp8_fp8 v[82:85], a[72:73], a[0:1], 0  // 000000004254: D3F30052 1A020148
	ds_write_b32 v22, v154                                     // 00000000425C: D81A0000 00009A16
	ds_write_b32 v22, v155 offset:64                           // 000000004264: D81A0040 00009B16
	v_mfma_f32_16x16x32_fp8_fp8 v[82:85], a[74:75], a[2:3], v[82:85]// 00000000426C: D3F30052 1D4A054A
	buffer_load_dword v27, v28, s[24:27], 0 offen              // 000000004274: E0501000 80061B1C
	v_mfma_f32_16x16x32_fp8_fp8 v[82:85], a[76:77], a[4:5], v[82:85]// 00000000427C: D3F30052 1D4A094C
	ds_write_b32 v22, v156 offset:4128                         // 000000004284: D81A1020 00009C16
	ds_write_b32 v22, v157 offset:4192                         // 00000000428C: D81A1060 00009D16
	v_mfma_f32_16x16x32_fp8_fp8 v[82:85], a[78:79], a[6:7], v[82:85]// 000000004294: D3F30052 1D4A0D4E
	v_mfma_f32_16x16x32_fp8_fp8 v[82:85], a[80:81], a[8:9], v[82:85]// 00000000429C: D3F30052 1D4A1150
	ds_write_b32 v22, v158 offset:8256                         // 0000000042A4: D81A2040 00009E16
	ds_write_b32 v22, v159 offset:8320                         // 0000000042AC: D81A2080 00009F16
	v_mfma_f32_16x16x32_fp8_fp8 v[82:85], a[82:83], a[10:11], v[82:85]// 0000000042B4: D3F30052 1D4A1552
	v_mfma_f32_16x16x32_fp8_fp8 v[82:85], a[84:85], a[12:13], v[82:85]// 0000000042BC: D3F30052 1D4A1954
	ds_write_b32 v22, v160 offset:12384                        // 0000000042C4: D81A3060 0000A016
	ds_write_b32 v22, v161 offset:12448                        // 0000000042CC: D81A30A0 0000A116
	v_mfma_f32_16x16x32_fp8_fp8 v[82:85], a[86:87], a[14:15], v[82:85]// 0000000042D4: D3F30052 1D4A1D56
	v_mfma_f32_16x16x32_fp8_fp8 v[82:85], a[88:89], a[16:17], v[82:85]// 0000000042DC: D3F30052 1D4A2158
	ds_write_b32 v22, v162 offset:512                          // 0000000042E4: D81A0200 0000A216
	ds_write_b32 v22, v163 offset:576                          // 0000000042EC: D81A0240 0000A316
	v_mfma_f32_16x16x32_fp8_fp8 v[82:85], a[90:91], a[18:19], v[82:85]// 0000000042F4: D3F30052 1D4A255A
	v_mfma_f32_16x16x32_fp8_fp8 v[82:85], a[92:93], a[20:21], v[82:85]// 0000000042FC: D3F30052 1D4A295C
	ds_write_b32 v22, v164 offset:4640                         // 000000004304: D81A1220 0000A416
	ds_write_b32 v22, v165 offset:4704                         // 00000000430C: D81A1260 0000A516
	v_mfma_f32_16x16x32_fp8_fp8 v[82:85], a[94:95], a[22:23], v[82:85]// 000000004314: D3F30052 1D4A2D5E
	v_mfma_f32_16x16x32_fp8_fp8 v[82:85], a[96:97], a[24:25], v[82:85]// 00000000431C: D3F30052 1D4A3160
	ds_write_b32 v22, v166 offset:8768                         // 000000004324: D81A2240 0000A616
	ds_write_b32 v22, v167 offset:8832                         // 00000000432C: D81A2280 0000A716
	v_mfma_f32_16x16x32_fp8_fp8 v[82:85], a[98:99], a[26:27], v[82:85]// 000000004334: D3F30052 1D4A3562
	v_mfma_f32_16x16x32_fp8_fp8 v[82:85], a[100:101], a[28:29], v[82:85]// 00000000433C: D3F30052 1D4A3964
	ds_write_b32 v22, v168 offset:12896                        // 000000004344: D81A3260 0000A816
	ds_write_b32 v22, v169 offset:12960                        // 00000000434C: D81A32A0 0000A916
	v_mfma_f32_16x16x32_fp8_fp8 v[82:85], a[102:103], a[30:31], v[82:85]// 000000004354: D3F30052 1D4A3D66
	v_mfma_f32_16x16x32_fp8_fp8 v[82:85], a[104:105], a[32:33], v[82:85]// 00000000435C: D3F30052 1D4A4168
	ds_write_b32 v23, v74 offset:16512                         // 000000004364: D81A4080 00004A17
	ds_write_b32 v23, v75 offset:16584                         // 00000000436C: D81A40C8 00004B17
	v_mfma_f32_16x16x32_fp8_fp8 v[82:85], a[106:107], a[34:35], v[82:85]// 000000004374: D3F30052 1D4A456A
	buffer_load_dword v78, v38, s[20:23], 0 offen              // 00000000437C: E0501000 80054E26
	buffer_load_dword v79, v39, s[20:23], 0 offen              // 000000004384: E0501000 80054F27
	v_add_u32_e32 v28, s73, v28                                // 00000000438C: 68383849
	v_mfma_f32_16x16x32_fp8_fp8 v[86:89], a[72:73], a[36:37], 0// 000000004390: D3F30056 1A024948
	v_mfma_f32_16x16x32_fp8_fp8 v[86:89], a[74:75], a[38:39], v[86:89]// 000000004398: D3F30056 1D5A4D4A
	v_mfma_f32_16x16x32_fp8_fp8 v[86:89], a[76:77], a[40:41], v[86:89]// 0000000043A0: D3F30056 1D5A514C
	v_mfma_f32_16x16x32_fp8_fp8 v[86:89], a[78:79], a[42:43], v[86:89]// 0000000043A8: D3F30056 1D5A554E
	v_mfma_f32_16x16x32_fp8_fp8 v[86:89], a[80:81], a[44:45], v[86:89]// 0000000043B0: D3F30056 1D5A5950
	v_mfma_f32_16x16x32_fp8_fp8 v[86:89], a[82:83], a[46:47], v[86:89]// 0000000043B8: D3F30056 1D5A5D52
	v_mfma_f32_16x16x32_fp8_fp8 v[86:89], a[84:85], a[48:49], v[86:89]// 0000000043C0: D3F30056 1D5A6154
	buffer_load_dword v80, v40, s[20:23], 0 offen              // 0000000043C8: E0501000 80055028
	buffer_load_dword v81, v41, s[20:23], 0 offen              // 0000000043D0: E0501000 80055129
	v_mfma_f32_16x16x32_fp8_fp8 v[86:89], a[86:87], a[50:51], v[86:89]// 0000000043D8: D3F30056 1D5A6556
	ds_write_b32 v23, v76 offset:16656                         // 0000000043E0: D81A4110 00004C17
	ds_write_b32 v23, v77 offset:16728                         // 0000000043E8: D81A4158 00004D17
	v_mfma_f32_16x16x32_fp8_fp8 v[86:89], a[88:89], a[52:53], v[86:89]// 0000000043F0: D3F30056 1D5A6958
	s_waitcnt lgkmcnt(4)                                       // 0000000043F8: BF8CC47F
	s_barrier                                                  // 0000000043FC: BF8A0000
	ds_read_b128 a[72:75], v24                                 // 000000004400: DBFE0000 48000018
	v_mfma_f32_16x16x32_fp8_fp8 v[86:89], a[90:91], a[54:55], v[86:89]// 000000004408: D3F30056 1D5A6D5A
	ds_read_b128 a[76:79], v24 offset:64                       // 000000004410: DBFE0040 4C000018
	v_mfma_f32_16x16x32_fp8_fp8 v[86:89], a[92:93], a[56:57], v[86:89]// 000000004418: D3F30056 1D5A715C
	ds_read_b128 a[80:83], v24 offset:128                      // 000000004420: DBFE0080 50000018
	v_mfma_f32_16x16x32_fp8_fp8 v[86:89], a[94:95], a[58:59], v[86:89]// 000000004428: D3F30056 1D5A755E
	ds_read_b128 a[84:87], v24 offset:192                      // 000000004430: DBFE00C0 54000018
	v_mfma_f32_16x16x32_fp8_fp8 v[86:89], a[96:97], a[60:61], v[86:89]// 000000004438: D3F30056 1D5A7960
	ds_read_b128 a[88:91], v24 offset:256                      // 000000004440: DBFE0100 58000018
	v_mfma_f32_16x16x32_fp8_fp8 v[86:89], a[98:99], a[62:63], v[86:89]// 000000004448: D3F30056 1D5A7D62
	ds_read_b128 a[92:95], v24 offset:320                      // 000000004450: DBFE0140 5C000018
	v_mfma_f32_16x16x32_fp8_fp8 v[86:89], a[100:101], a[64:65], v[86:89]// 000000004458: D3F30056 1D5A8164
	ds_read_b128 a[96:99], v24 offset:384                      // 000000004460: DBFE0180 60000018
	v_mfma_f32_16x16x32_fp8_fp8 v[86:89], a[102:103], a[66:67], v[86:89]// 000000004468: D3F30056 1D5A8566
	ds_read_b128 a[100:103], v24 offset:448                    // 000000004470: DBFE01C0 64000018
	v_mfma_f32_16x16x32_fp8_fp8 v[86:89], a[104:105], a[68:69], v[86:89]// 000000004478: D3F30056 1D5A8968
	v_mfma_f32_16x16x32_fp8_fp8 v[86:89], a[106:107], a[70:71], v[86:89]// 000000004480: D3F30056 1D5A8D6A
	s_cmp_le_i32 s83, s82                                      // 000000004488: BF055253
	s_cbranch_scc1 label_0887                                  // 00000000448C: BF850023
	s_add_u32 s57, s82, 0                                      // 000000004490: 80398052
	v_mov_b32_e32 v38, s57                                     // 000000004494: 7E4C0239
	s_sub_u32 s56, s83, 63                                     // 000000004498: 80B8BF53
	s_mul_i32 s57, s7, 16                                      // 00000000449C: 92399007
	v_lshrrev_b32_e32 v47, 4, v0                               // 0000000044A0: 205E0084
	v_mul_i32_i24_e32 v47, 4, v47                              // 0000000044A4: 0C5E5E84
	v_add_u32_e32 v47, s56, v47                                // 0000000044A8: 685E5E38
	v_add_u32_e32 v47, s57, v47                                // 0000000044AC: 685E5E39
	v_add_u32_e32 v48, 1, v47                                  // 0000000044B0: 68605E81
	v_add_u32_e32 v49, 2, v47                                  // 0000000044B4: 68625E82
	v_add_u32_e32 v50, 3, v47                                  // 0000000044B8: 68645E83
	v_cmp_le_u32_e64 s[34:35], v47, v38                        // 0000000044BC: D0CB0022 00024D2F
	v_add_u32_e32 v47, 64, v47                                 // 0000000044C4: 685E5EC0
	s_nop 0                                                    // 0000000044C8: BF800000
	v_cndmask_b32_e64 v82, v11, v82, s[34:35]                  // 0000000044CC: D1000052 008AA50B
	v_cmp_le_u32_e64 s[34:35], v48, v38                        // 0000000044D4: D0CB0022 00024D30
	v_add_u32_e32 v48, 64, v48                                 // 0000000044DC: 686060C0
	s_nop 0                                                    // 0000000044E0: BF800000
	v_cndmask_b32_e64 v83, v11, v83, s[34:35]                  // 0000000044E4: D1000053 008AA70B
	v_cmp_le_u32_e64 s[34:35], v49, v38                        // 0000000044EC: D0CB0022 00024D31
	v_add_u32_e32 v49, 64, v49                                 // 0000000044F4: 686262C0
	s_nop 0                                                    // 0000000044F8: BF800000
	v_cndmask_b32_e64 v84, v11, v84, s[34:35]                  // 0000000044FC: D1000054 008AA90B
	v_cmp_le_u32_e64 s[34:35], v50, v38                        // 000000004504: D0CB0022 00024D32
	v_add_u32_e32 v50, 64, v50                                 // 00000000450C: 686464C0
	s_nop 0                                                    // 000000004510: BF800000
	v_cndmask_b32_e64 v85, v11, v85, s[34:35]                  // 000000004514: D1000055 008AAB0B

000000000000451c <label_0887>:
	v_mov_b32_e32 v8, v82                                      // 00000000451C: 7E100352
	v_max3_f32 v8, v82, v83, v8                                // 000000004520: D1D30008 0422A752
	v_max3_f32 v8, v84, v85, v8                                // 000000004528: D1D30008 0422AB54
	ds_write_b32 v5, v8 offset:21120                           // 000000004530: D81A5280 00000805
	v_perm_b32 v34, v188, v186, s54                            // 000000004538: D1ED0022 00DB75BC
	v_perm_b32 v35, v188, v186, s55                            // 000000004540: D1ED0023 00DF75BC
	v_perm_b32 v36, v192, v190, s54                            // 000000004548: D1ED0024 00DB7DC0
	v_perm_b32 v37, v192, v190, s55                            // 000000004550: D1ED0025 00DF7DC0
	v_perm_b32 v218, v36, v34, s53                             // 000000004558: D1ED00DA 00D64524
	v_perm_b32 v219, v36, v34, s52                             // 000000004560: D1ED00DB 00D24524
	v_perm_b32 v220, v37, v35, s53                             // 000000004568: D1ED00DC 00D64725
	v_perm_b32 v221, v37, v35, s52                             // 000000004570: D1ED00DD 00D24725
	v_accvgpr_write_b32 a108, v218                             // 000000004578: D3D9406C 180001DA
	v_accvgpr_write_b32 a112, v219                             // 000000004580: D3D94070 180001DB
	v_accvgpr_write_b32 a116, v220                             // 000000004588: D3D94074 180001DC
	v_accvgpr_write_b32 a120, v221                             // 000000004590: D3D94078 180001DD
	v_perm_b32 v34, v189, v187, s54                            // 000000004598: D1ED0022 00DB77BD
	v_perm_b32 v35, v189, v187, s55                            // 0000000045A0: D1ED0023 00DF77BD
	v_perm_b32 v36, v193, v191, s54                            // 0000000045A8: D1ED0024 00DB7FC1
	v_perm_b32 v37, v193, v191, s55                            // 0000000045B0: D1ED0025 00DF7FC1
	v_perm_b32 v218, v36, v34, s53                             // 0000000045B8: D1ED00DA 00D64524
	v_perm_b32 v219, v36, v34, s52                             // 0000000045C0: D1ED00DB 00D24524
	v_perm_b32 v220, v37, v35, s53                             // 0000000045C8: D1ED00DC 00D64725
	v_perm_b32 v221, v37, v35, s52                             // 0000000045D0: D1ED00DD 00D24725
	v_accvgpr_write_b32 a124, v218                             // 0000000045D8: D3D9407C 180001DA
	v_accvgpr_write_b32 a128, v219                             // 0000000045E0: D3D94080 180001DB
	v_accvgpr_write_b32 a132, v220                             // 0000000045E8: D3D94084 180001DC
	v_accvgpr_write_b32 a136, v221                             // 0000000045F0: D3D94088 180001DD
	s_waitcnt lgkmcnt(0)                                       // 0000000045F8: BF8CC07F
	s_barrier                                                  // 0000000045FC: BF8A0000
	v_perm_b32 v34, v196, v194, s54                            // 000000004600: D1ED0022 00DB85C4
	v_perm_b32 v35, v196, v194, s55                            // 000000004608: D1ED0023 00DF85C4
	v_perm_b32 v36, v200, v198, s54                            // 000000004610: D1ED0024 00DB8DC8
	v_perm_b32 v37, v200, v198, s55                            // 000000004618: D1ED0025 00DF8DC8
	v_perm_b32 v218, v36, v34, s53                             // 000000004620: D1ED00DA 00D64524
	v_perm_b32 v219, v36, v34, s52                             // 000000004628: D1ED00DB 00D24524
	v_perm_b32 v220, v37, v35, s53                             // 000000004630: D1ED00DC 00D64725
	v_perm_b32 v221, v37, v35, s52                             // 000000004638: D1ED00DD 00D24725
	v_accvgpr_write_b32 a109, v218                             // 000000004640: D3D9406D 180001DA
	v_accvgpr_write_b32 a113, v219                             // 000000004648: D3D94071 180001DB
	v_accvgpr_write_b32 a117, v220                             // 000000004650: D3D94075 180001DC
	v_accvgpr_write_b32 a121, v221                             // 000000004658: D3D94079 180001DD
	ds_read_b32 v58, v4 offset:21120                           // 000000004660: D86C5280 3A000004
	buffer_load_dword v186, v42, s[20:23], 0 offen             // 000000004668: E0501000 8005BA2A
	buffer_load_dword v187, v42, s[20:23], 0 offen offset:64   // 000000004670: E0501040 8005BB2A
	ds_read_b32 v59, v4 offset:21184                           // 000000004678: D86C52C0 3B000004
	ds_read_b32 v60, v4 offset:21248                           // 000000004680: D86C5300 3C000004
	ds_read_b32 v61, v4 offset:21312                           // 000000004688: D86C5340 3D000004
	ds_read_b32 v62, v4 offset:21376                           // 000000004690: D86C5380 3E000004
	ds_read_b32 v63, v4 offset:21440                           // 000000004698: D86C53C0 3F000004
	ds_read_b32 v64, v4 offset:21504                           // 0000000046A0: D86C5400 40000004
	ds_read_b32 v65, v4 offset:21568                           // 0000000046A8: D86C5440 41000004
	ds_read_b32 v66, v4 offset:21632                           // 0000000046B0: D86C5480 42000004
	buffer_load_dword v188, v43, s[20:23], 0 offen             // 0000000046B8: E0501000 8005BC2B
	buffer_load_dword v189, v43, s[20:23], 0 offen offset:64   // 0000000046C0: E0501040 8005BD2B
	ds_read_b32 v67, v4 offset:21696                           // 0000000046C8: D86C54C0 43000004
	ds_read_b32 v68, v4 offset:21760                           // 0000000046D0: D86C5500 44000004
	ds_read_b32 v69, v4 offset:21824                           // 0000000046D8: D86C5540 45000004
	ds_read_b32 v70, v4 offset:21888                           // 0000000046E0: D86C5580 46000004
	ds_read_b32 v71, v4 offset:21952                           // 0000000046E8: D86C55C0 47000004
	ds_read_b32 v72, v4 offset:22016                           // 0000000046F0: D86C5600 48000004
	ds_read_b32 v73, v4 offset:22080                           // 0000000046F8: D86C5640 49000004
	buffer_load_dword v190, v44, s[20:23], 0 offen             // 000000004700: E0501000 8005BE2C
	buffer_load_dword v191, v44, s[20:23], 0 offen offset:64   // 000000004708: E0501040 8005BF2C
	v_perm_b32 v34, v197, v195, s54                            // 000000004710: D1ED0022 00DB87C5
	v_perm_b32 v35, v197, v195, s55                            // 000000004718: D1ED0023 00DF87C5
	v_perm_b32 v36, v201, v199, s54                            // 000000004720: D1ED0024 00DB8FC9
	v_perm_b32 v37, v201, v199, s55                            // 000000004728: D1ED0025 00DF8FC9
	v_perm_b32 v218, v36, v34, s53                             // 000000004730: D1ED00DA 00D64524
	v_perm_b32 v219, v36, v34, s52                             // 000000004738: D1ED00DB 00D24524
	v_perm_b32 v220, v37, v35, s53                             // 000000004740: D1ED00DC 00D64725
	v_perm_b32 v221, v37, v35, s52                             // 000000004748: D1ED00DD 00D24725
	v_accvgpr_write_b32 a125, v218                             // 000000004750: D3D9407D 180001DA
	v_accvgpr_write_b32 a129, v219                             // 000000004758: D3D94081 180001DB
	v_accvgpr_write_b32 a133, v220                             // 000000004760: D3D94085 180001DC
	v_accvgpr_write_b32 a137, v221                             // 000000004768: D3D94089 180001DD
	s_waitcnt lgkmcnt(0)                                       // 000000004770: BF8CC07F
	v_max3_f32 v8, v58, v59, v8                                // 000000004774: D1D30008 0422773A
	v_max3_f32 v8, v60, v61, v8                                // 00000000477C: D1D30008 04227B3C
	v_max3_f32 v8, v62, v63, v8                                // 000000004784: D1D30008 04227F3E
	v_max3_f32 v8, v64, v65, v8                                // 00000000478C: D1D30008 04228340
	v_max3_f32 v8, v66, v67, v8                                // 000000004794: D1D30008 04228742
	v_max3_f32 v8, v68, v69, v8                                // 00000000479C: D1D30008 04228B44
	v_max3_f32 v8, v70, v71, v8                                // 0000000047A4: D1D30008 04228F46
	v_max3_f32 v8, v72, v73, v8                                // 0000000047AC: D1D30008 04229348
	buffer_load_dword v192, v45, s[20:23], 0 offen             // 0000000047B4: E0501000 8005C02D
	buffer_load_dword v193, v45, s[20:23], 0 offen offset:64   // 0000000047BC: E0501040 8005C12D
	v_cmp_eq_u32_e64 s[34:35], v11, v12                        // 0000000047C4: D0CA0022 0002190B
	v_max_f32_e32 v14, v8, v12                                 // 0000000047CC: 161C1908
	v_sub_f32_e32 v20, v12, v14                                // 0000000047D0: 04281D0C
	v_cndmask_b32_e64 v20, v20, 0, s[34:35]                    // 0000000047D4: D1000014 00890114
	v_mov_b32_e32 v12, v14                                     // 0000000047DC: 7E18030E
	v_mul_f32_e32 v9, s5, v14                                  // 0000000047E0: 0A121C05
	v_mul_f32_e32 v20, s5, v20                                 // 0000000047E4: 0A282805
	v_exp_f32_e32 v20, v20                                     // 0000000047E8: 7E284114
	buffer_load_dword v194, v46, s[20:23], 0 offen             // 0000000047EC: E0501000 8005C22E
	buffer_load_dword v195, v46, s[20:23], 0 offen offset:64   // 0000000047F4: E0501040 8005C32E
	v_fma_f32 v82, v82, s5, -v9                                // 0000000047FC: D1CB0052 84240B52
	v_fma_f32 v83, v83, s5, -v9                                // 000000004804: D1CB0053 84240B53
	v_fma_f32 v84, v84, s5, -v9                                // 00000000480C: D1CB0054 84240B54
	v_fma_f32 v85, v85, s5, -v9                                // 000000004814: D1CB0055 84240B55
	v_exp_f32_e32 v82, v82                                     // 00000000481C: 7EA44152
	v_exp_f32_e32 v83, v83                                     // 000000004820: 7EA64153
	v_exp_f32_e32 v84, v84                                     // 000000004824: 7EA84154
	v_exp_f32_e32 v85, v85                                     // 000000004828: 7EAA4155
	buffer_load_dword v196, v47, s[20:23], 0 offen             // 00000000482C: E0501000 8005C42F
	buffer_load_dword v197, v47, s[20:23], 0 offen offset:64   // 000000004834: E0501040 8005C52F
	v_mul_f32_e32 v15, v20, v15                                // 00000000483C: 0A1E1F14
	v_mov_b32_e32 v17, v82                                     // 000000004840: 7E220352
	v_add_f32_e32 v17, v83, v17                                // 000000004844: 02222353
	v_add_f32_e32 v17, v84, v17                                // 000000004848: 02222354
	v_add_f32_e32 v17, v85, v17                                // 00000000484C: 02222355
	v_add_f32_e32 v15, v17, v15                                // 000000004850: 021E1F11
	buffer_load_dword v198, v48, s[20:23], 0 offen             // 000000004854: E0501000 8005C630
	buffer_load_dword v199, v48, s[20:23], 0 offen offset:64   // 00000000485C: E0501040 8005C730
	v_cvt_pk_fp8_f32 v82, v82, v83                             // 000000004864: D2A20052 0002A752
	v_cvt_pk_fp8_f32 v82, v84, v85 op_sel:[0,0,1]              // 00000000486C: D2A24052 0002AB54
	ds_write_b32 v7, v82                                       // 000000004874: D81A0000 00005207
	buffer_load_dword v200, v49, s[20:23], 0 offen             // 00000000487C: E0501000 8005C831
	buffer_load_dword v201, v49, s[20:23], 0 offen offset:64   // 000000004884: E0501040 8005C931
	s_waitcnt lgkmcnt(0)                                       // 00000000488C: BF8CC07F
	s_barrier                                                  // 000000004890: BF8A0000
	ds_read_b64 v[82:83], v6                                   // 000000004894: D8EC0000 52000006
	ds_read_b64 v[84:85], v6 offset:32                         // 00000000489C: D8EC0020 54000006
	v_mov_b32_e32 v34, v20                                     // 0000000048A4: 7E440314
	v_mov_b32_e32 v35, v20                                     // 0000000048A8: 7E460314
	v_pk_mul_f32 v[90:91], v[34:35], v[90:91]                  // 0000000048AC: D3B1405A 1802B522
	v_pk_mul_f32 v[92:93], v[34:35], v[92:93]                  // 0000000048B4: D3B1405C 1802B922
	v_pk_mul_f32 v[94:95], v[34:35], v[94:95]                  // 0000000048BC: D3B1405E 1802BD22
	v_pk_mul_f32 v[96:97], v[34:35], v[96:97]                  // 0000000048C4: D3B14060 1802C122
	v_pk_mul_f32 v[98:99], v[34:35], v[98:99]                  // 0000000048CC: D3B14062 1802C522
	v_pk_mul_f32 v[100:101], v[34:35], v[100:101]              // 0000000048D4: D3B14064 1802C922
	v_pk_mul_f32 v[102:103], v[34:35], v[102:103]              // 0000000048DC: D3B14066 1802CD22
	v_pk_mul_f32 v[104:105], v[34:35], v[104:105]              // 0000000048E4: D3B14068 1802D122
	v_pk_mul_f32 v[106:107], v[34:35], v[106:107]              // 0000000048EC: D3B1406A 1802D522
	v_pk_mul_f32 v[108:109], v[34:35], v[108:109]              // 0000000048F4: D3B1406C 1802D922
	v_pk_mul_f32 v[110:111], v[34:35], v[110:111]              // 0000000048FC: D3B1406E 1802DD22
	v_pk_mul_f32 v[112:113], v[34:35], v[112:113]              // 000000004904: D3B14070 1802E122
	v_pk_mul_f32 v[114:115], v[34:35], v[114:115]              // 00000000490C: D3B14072 1802E522
	v_pk_mul_f32 v[116:117], v[34:35], v[116:117]              // 000000004914: D3B14074 1802E922
	v_pk_mul_f32 v[118:119], v[34:35], v[118:119]              // 00000000491C: D3B14076 1802ED22
	v_pk_mul_f32 v[120:121], v[34:35], v[120:121]              // 000000004924: D3B14078 1802F122
	s_waitcnt lgkmcnt(0)                                       // 00000000492C: BF8CC07F
	s_cmp_le_i32 s83, s82                                      // 000000004930: BF055253
	s_cbranch_scc1 label_09B1                                  // 000000004934: BF850023
	s_add_u32 s57, s82, 1                                      // 000000004938: 80398152
	v_mov_b32_e32 v38, s57                                     // 00000000493C: 7E4C0239
	s_sub_u32 s56, s83, 63                                     // 000000004940: 80B8BF53
	s_mul_i32 s57, s7, 16                                      // 000000004944: 92399007
	v_lshrrev_b32_e32 v47, 4, v0                               // 000000004948: 205E0084
	v_mul_i32_i24_e32 v47, 4, v47                              // 00000000494C: 0C5E5E84
	v_add_u32_e32 v47, s56, v47                                // 000000004950: 685E5E38
	v_add_u32_e32 v47, s57, v47                                // 000000004954: 685E5E39
	v_add_u32_e32 v48, 1, v47                                  // 000000004958: 68605E81
	v_add_u32_e32 v49, 2, v47                                  // 00000000495C: 68625E82
	v_add_u32_e32 v50, 3, v47                                  // 000000004960: 68645E83
	v_cmp_le_u32_e64 s[34:35], v47, v38                        // 000000004964: D0CB0022 00024D2F
	v_add_u32_e32 v47, 64, v47                                 // 00000000496C: 685E5EC0
	s_nop 0                                                    // 000000004970: BF800000
	v_cndmask_b32_e64 v86, v11, v86, s[34:35]                  // 000000004974: D1000056 008AAD0B
	v_cmp_le_u32_e64 s[34:35], v48, v38                        // 00000000497C: D0CB0022 00024D30
	v_add_u32_e32 v48, 64, v48                                 // 000000004984: 686060C0
	s_nop 0                                                    // 000000004988: BF800000
	v_cndmask_b32_e64 v87, v11, v87, s[34:35]                  // 00000000498C: D1000057 008AAF0B
	v_cmp_le_u32_e64 s[34:35], v49, v38                        // 000000004994: D0CB0022 00024D31
	v_add_u32_e32 v49, 64, v49                                 // 00000000499C: 686262C0
	s_nop 0                                                    // 0000000049A0: BF800000
	v_cndmask_b32_e64 v88, v11, v88, s[34:35]                  // 0000000049A4: D1000058 008AB10B
	v_cmp_le_u32_e64 s[34:35], v50, v38                        // 0000000049AC: D0CB0022 00024D32
	v_add_u32_e32 v50, 64, v50                                 // 0000000049B4: 686464C0
	s_nop 0                                                    // 0000000049B8: BF800000
	v_cndmask_b32_e64 v89, v11, v89, s[34:35]                  // 0000000049BC: D1000059 008AB30B

00000000000049c4 <label_09B1>:
	s_add_u32 s83, s84, s83                                    // 0000000049C4: 80535354
	v_mov_b32_e32 v8, v86                                      // 0000000049C8: 7E100356
	v_max3_f32 v8, v86, v87, v8                                // 0000000049CC: D1D30008 0422AF56
	v_max3_f32 v8, v88, v89, v8                                // 0000000049D4: D1D30008 0422B358
	ds_write_b32 v5, v8 offset:21120                           // 0000000049DC: D81A5280 00000805
	v_perm_b32 v34, v204, v202, s54                            // 0000000049E4: D1ED0022 00DB95CC
	v_perm_b32 v35, v204, v202, s55                            // 0000000049EC: D1ED0023 00DF95CC
	v_perm_b32 v36, v208, v206, s54                            // 0000000049F4: D1ED0024 00DB9DD0
	v_perm_b32 v37, v208, v206, s55                            // 0000000049FC: D1ED0025 00DF9DD0
	v_perm_b32 v218, v36, v34, s53                             // 000000004A04: D1ED00DA 00D64524
	v_perm_b32 v219, v36, v34, s52                             // 000000004A0C: D1ED00DB 00D24524
	v_perm_b32 v220, v37, v35, s53                             // 000000004A14: D1ED00DC 00D64725
	v_perm_b32 v221, v37, v35, s52                             // 000000004A1C: D1ED00DD 00D24725
	v_accvgpr_write_b32 a110, v218                             // 000000004A24: D3D9406E 180001DA
	v_accvgpr_write_b32 a114, v219                             // 000000004A2C: D3D94072 180001DB
	v_accvgpr_write_b32 a118, v220                             // 000000004A34: D3D94076 180001DC
	v_accvgpr_write_b32 a122, v221                             // 000000004A3C: D3D9407A 180001DD
	v_perm_b32 v34, v205, v203, s54                            // 000000004A44: D1ED0022 00DB97CD
	v_perm_b32 v35, v205, v203, s55                            // 000000004A4C: D1ED0023 00DF97CD
	v_perm_b32 v36, v209, v207, s54                            // 000000004A54: D1ED0024 00DB9FD1
	v_perm_b32 v37, v209, v207, s55                            // 000000004A5C: D1ED0025 00DF9FD1
	v_perm_b32 v218, v36, v34, s53                             // 000000004A64: D1ED00DA 00D64524
	v_perm_b32 v219, v36, v34, s52                             // 000000004A6C: D1ED00DB 00D24524
	v_perm_b32 v220, v37, v35, s53                             // 000000004A74: D1ED00DC 00D64725
	v_perm_b32 v221, v37, v35, s52                             // 000000004A7C: D1ED00DD 00D24725
	v_accvgpr_write_b32 a126, v218                             // 000000004A84: D3D9407E 180001DA
	v_accvgpr_write_b32 a130, v219                             // 000000004A8C: D3D94082 180001DB
	v_accvgpr_write_b32 a134, v220                             // 000000004A94: D3D94086 180001DC
	v_accvgpr_write_b32 a138, v221                             // 000000004A9C: D3D9408A 180001DD
	s_waitcnt lgkmcnt(0)                                       // 000000004AA4: BF8CC07F
	s_barrier                                                  // 000000004AA8: BF8A0000
	v_perm_b32 v34, v212, v210, s54                            // 000000004AAC: D1ED0022 00DBA5D4
	v_perm_b32 v35, v212, v210, s55                            // 000000004AB4: D1ED0023 00DFA5D4
	v_perm_b32 v36, v216, v214, s54                            // 000000004ABC: D1ED0024 00DBADD8
	v_perm_b32 v37, v216, v214, s55                            // 000000004AC4: D1ED0025 00DFADD8
	v_perm_b32 v218, v36, v34, s53                             // 000000004ACC: D1ED00DA 00D64524
	v_perm_b32 v219, v36, v34, s52                             // 000000004AD4: D1ED00DB 00D24524
	v_perm_b32 v220, v37, v35, s53                             // 000000004ADC: D1ED00DC 00D64725
	v_perm_b32 v221, v37, v35, s52                             // 000000004AE4: D1ED00DD 00D24725
	v_accvgpr_write_b32 a111, v218                             // 000000004AEC: D3D9406F 180001DA
	v_accvgpr_write_b32 a115, v219                             // 000000004AF4: D3D94073 180001DB
	v_accvgpr_write_b32 a119, v220                             // 000000004AFC: D3D94077 180001DC
	v_accvgpr_write_b32 a123, v221                             // 000000004B04: D3D9407B 180001DD
	ds_read_b32 v58, v4 offset:21120                           // 000000004B0C: D86C5280 3A000004
	buffer_load_dword v202, v50, s[20:23], 0 offen             // 000000004B14: E0501000 8005CA32
	buffer_load_dword v203, v50, s[20:23], 0 offen offset:64   // 000000004B1C: E0501040 8005CB32
	ds_read_b32 v59, v4 offset:21184                           // 000000004B24: D86C52C0 3B000004
	ds_read_b32 v60, v4 offset:21248                           // 000000004B2C: D86C5300 3C000004
	ds_read_b32 v61, v4 offset:21312                           // 000000004B34: D86C5340 3D000004
	ds_read_b32 v62, v4 offset:21376                           // 000000004B3C: D86C5380 3E000004
	ds_read_b32 v63, v4 offset:21440                           // 000000004B44: D86C53C0 3F000004
	ds_read_b32 v64, v4 offset:21504                           // 000000004B4C: D86C5400 40000004
	ds_read_b32 v65, v4 offset:21568                           // 000000004B54: D86C5440 41000004
	ds_read_b32 v66, v4 offset:21632                           // 000000004B5C: D86C5480 42000004
	buffer_load_dword v204, v51, s[20:23], 0 offen             // 000000004B64: E0501000 8005CC33
	buffer_load_dword v205, v51, s[20:23], 0 offen offset:64   // 000000004B6C: E0501040 8005CD33
	ds_read_b32 v67, v4 offset:21696                           // 000000004B74: D86C54C0 43000004
	ds_read_b32 v68, v4 offset:21760                           // 000000004B7C: D86C5500 44000004
	ds_read_b32 v69, v4 offset:21824                           // 000000004B84: D86C5540 45000004
	ds_read_b32 v70, v4 offset:21888                           // 000000004B8C: D86C5580 46000004
	ds_read_b32 v71, v4 offset:21952                           // 000000004B94: D86C55C0 47000004
	ds_read_b32 v72, v4 offset:22016                           // 000000004B9C: D86C5600 48000004
	ds_read_b32 v73, v4 offset:22080                           // 000000004BA4: D86C5640 49000004
	buffer_load_dword v206, v52, s[20:23], 0 offen             // 000000004BAC: E0501000 8005CE34
	buffer_load_dword v207, v52, s[20:23], 0 offen offset:64   // 000000004BB4: E0501040 8005CF34
	v_perm_b32 v34, v213, v211, s54                            // 000000004BBC: D1ED0022 00DBA7D5
	v_perm_b32 v35, v213, v211, s55                            // 000000004BC4: D1ED0023 00DFA7D5
	v_perm_b32 v36, v217, v215, s54                            // 000000004BCC: D1ED0024 00DBAFD9
	v_perm_b32 v37, v217, v215, s55                            // 000000004BD4: D1ED0025 00DFAFD9
	v_perm_b32 v218, v36, v34, s53                             // 000000004BDC: D1ED00DA 00D64524
	v_perm_b32 v219, v36, v34, s52                             // 000000004BE4: D1ED00DB 00D24524
	v_perm_b32 v220, v37, v35, s53                             // 000000004BEC: D1ED00DC 00D64725
	v_perm_b32 v221, v37, v35, s52                             // 000000004BF4: D1ED00DD 00D24725
	v_accvgpr_write_b32 a127, v218                             // 000000004BFC: D3D9407F 180001DA
	v_accvgpr_write_b32 a131, v219                             // 000000004C04: D3D94083 180001DB
	v_accvgpr_write_b32 a135, v220                             // 000000004C0C: D3D94087 180001DC
	v_accvgpr_write_b32 a139, v221                             // 000000004C14: D3D9408B 180001DD
	s_waitcnt lgkmcnt(0)                                       // 000000004C1C: BF8CC07F
	v_max3_f32 v8, v58, v59, v8                                // 000000004C20: D1D30008 0422773A
	v_max3_f32 v8, v60, v61, v8                                // 000000004C28: D1D30008 04227B3C
	v_max3_f32 v8, v62, v63, v8                                // 000000004C30: D1D30008 04227F3E
	v_max3_f32 v8, v64, v65, v8                                // 000000004C38: D1D30008 04228340
	v_max3_f32 v8, v66, v67, v8                                // 000000004C40: D1D30008 04228742
	v_max3_f32 v8, v68, v69, v8                                // 000000004C48: D1D30008 04228B44
	v_max3_f32 v8, v70, v71, v8                                // 000000004C50: D1D30008 04228F46
	v_max3_f32 v8, v72, v73, v8                                // 000000004C58: D1D30008 04229348
	buffer_load_dword v208, v53, s[20:23], 0 offen             // 000000004C60: E0501000 8005D035
	buffer_load_dword v209, v53, s[20:23], 0 offen offset:64   // 000000004C68: E0501040 8005D135
	v_cmp_eq_u32_e64 s[34:35], v11, v13                        // 000000004C70: D0CA0022 00021B0B
	v_max_f32_e32 v14, v8, v13                                 // 000000004C78: 161C1B08
	v_sub_f32_e32 v21, v13, v14                                // 000000004C7C: 042A1D0D
	v_cndmask_b32_e64 v21, v21, 0, s[34:35]                    // 000000004C80: D1000015 00890115
	v_mov_b32_e32 v13, v14                                     // 000000004C88: 7E1A030E
	v_mul_f32_e32 v9, s5, v14                                  // 000000004C8C: 0A121C05
	v_mul_f32_e32 v21, s5, v21                                 // 000000004C90: 0A2A2A05
	v_exp_f32_e32 v21, v21                                     // 000000004C94: 7E2A4115
	buffer_load_dword v210, v54, s[20:23], 0 offen             // 000000004C98: E0501000 8005D236
	buffer_load_dword v211, v54, s[20:23], 0 offen offset:64   // 000000004CA0: E0501040 8005D336
	v_fma_f32 v86, v86, s5, -v9                                // 000000004CA8: D1CB0056 84240B56
	v_fma_f32 v87, v87, s5, -v9                                // 000000004CB0: D1CB0057 84240B57
	v_fma_f32 v88, v88, s5, -v9                                // 000000004CB8: D1CB0058 84240B58
	v_fma_f32 v89, v89, s5, -v9                                // 000000004CC0: D1CB0059 84240B59
	v_exp_f32_e32 v86, v86                                     // 000000004CC8: 7EAC4156
	v_exp_f32_e32 v87, v87                                     // 000000004CCC: 7EAE4157
	v_exp_f32_e32 v88, v88                                     // 000000004CD0: 7EB04158
	v_exp_f32_e32 v89, v89                                     // 000000004CD4: 7EB24159
	buffer_load_dword v212, v55, s[20:23], 0 offen             // 000000004CD8: E0501000 8005D437
	buffer_load_dword v213, v55, s[20:23], 0 offen offset:64   // 000000004CE0: E0501040 8005D537
	v_mul_f32_e32 v16, v21, v16                                // 000000004CE8: 0A202115
	v_mov_b32_e32 v17, v86                                     // 000000004CEC: 7E220356
	v_add_f32_e32 v17, v87, v17                                // 000000004CF0: 02222357
	v_add_f32_e32 v17, v88, v17                                // 000000004CF4: 02222358
	v_add_f32_e32 v17, v89, v17                                // 000000004CF8: 02222359
	v_add_f32_e32 v16, v17, v16                                // 000000004CFC: 02202111
	buffer_load_dword v214, v56, s[20:23], 0 offen             // 000000004D00: E0501000 8005D638
	buffer_load_dword v215, v56, s[20:23], 0 offen offset:64   // 000000004D08: E0501040 8005D738
	v_cvt_pk_fp8_f32 v86, v86, v87                             // 000000004D10: D2A20056 0002AF56
	v_cvt_pk_fp8_f32 v86, v88, v89 op_sel:[0,0,1]              // 000000004D18: D2A24056 0002B358
	ds_write_b32 v7, v86                                       // 000000004D20: D81A0000 00005607
	buffer_load_dword v216, v57, s[20:23], 0 offen             // 000000004D28: E0501000 8005D839
	buffer_load_dword v217, v57, s[20:23], 0 offen offset:64   // 000000004D30: E0501040 8005D939
	v_mov_b32_e32 v34, v21                                     // 000000004D38: 7E440315
	v_mov_b32_e32 v35, v21                                     // 000000004D3C: 7E460315
	v_pk_mul_f32 v[122:123], v[34:35], v[122:123]              // 000000004D40: D3B1407A 1802F522
	v_pk_mul_f32 v[124:125], v[34:35], v[124:125]              // 000000004D48: D3B1407C 1802F922
	v_pk_mul_f32 v[126:127], v[34:35], v[126:127]              // 000000004D50: D3B1407E 1802FD22
	v_pk_mul_f32 v[128:129], v[34:35], v[128:129]              // 000000004D58: D3B14080 18030122
	v_pk_mul_f32 v[130:131], v[34:35], v[130:131]              // 000000004D60: D3B14082 18030522
	v_pk_mul_f32 v[132:133], v[34:35], v[132:133]              // 000000004D68: D3B14084 18030922
	v_pk_mul_f32 v[134:135], v[34:35], v[134:135]              // 000000004D70: D3B14086 18030D22
	v_pk_mul_f32 v[136:137], v[34:35], v[136:137]              // 000000004D78: D3B14088 18031122
	v_pk_mul_f32 v[138:139], v[34:35], v[138:139]              // 000000004D80: D3B1408A 18031522
	v_pk_mul_f32 v[140:141], v[34:35], v[140:141]              // 000000004D88: D3B1408C 18031922
	v_pk_mul_f32 v[142:143], v[34:35], v[142:143]              // 000000004D90: D3B1408E 18031D22
	v_pk_mul_f32 v[144:145], v[34:35], v[144:145]              // 000000004D98: D3B14090 18032122
	v_pk_mul_f32 v[146:147], v[34:35], v[146:147]              // 000000004DA0: D3B14092 18032522
	v_pk_mul_f32 v[148:149], v[34:35], v[148:149]              // 000000004DA8: D3B14094 18032922
	v_pk_mul_f32 v[150:151], v[34:35], v[150:151]              // 000000004DB0: D3B14096 18032D22
	v_pk_mul_f32 v[152:153], v[34:35], v[152:153]              // 000000004DB8: D3B14098 18033122
	s_waitcnt lgkmcnt(0)                                       // 000000004DC0: BF8CC07F
	s_barrier                                                  // 000000004DC4: BF8A0000
	ds_read_b64 v[86:87], v6                                   // 000000004DC8: D8EC0000 56000006
	ds_read_b64 v[88:89], v6 offset:32                         // 000000004DD0: D8EC0020 58000006
	v_mul_u32_u24_dpp v42, v26, v10 row_newbcast:0 row_mask:0xf bank_mask:0xf// 000000004DD8: 105414FA FF01501A
	v_mul_u32_u24_dpp v43, v26, v10 row_newbcast:1 row_mask:0xf bank_mask:0xf// 000000004DE0: 105614FA FF01511A
	v_mul_u32_u24_dpp v44, v26, v10 row_newbcast:2 row_mask:0xf bank_mask:0xf// 000000004DE8: 105814FA FF01521A
	v_mul_u32_u24_dpp v45, v26, v10 row_newbcast:3 row_mask:0xf bank_mask:0xf// 000000004DF0: 105A14FA FF01531A
	v_mul_u32_u24_dpp v46, v26, v10 row_newbcast:4 row_mask:0xf bank_mask:0xf// 000000004DF8: 105C14FA FF01541A
	v_mul_u32_u24_dpp v47, v26, v10 row_newbcast:5 row_mask:0xf bank_mask:0xf// 000000004E00: 105E14FA FF01551A
	v_mul_u32_u24_dpp v48, v26, v10 row_newbcast:6 row_mask:0xf bank_mask:0xf// 000000004E08: 106014FA FF01561A
	v_mul_u32_u24_dpp v49, v26, v10 row_newbcast:7 row_mask:0xf bank_mask:0xf// 000000004E10: 106214FA FF01571A
	v_mul_u32_u24_dpp v50, v26, v10 row_newbcast:8 row_mask:0xf bank_mask:0xf// 000000004E18: 106414FA FF01581A
	v_mul_u32_u24_dpp v51, v26, v10 row_newbcast:9 row_mask:0xf bank_mask:0xf// 000000004E20: 106614FA FF01591A
	v_mul_u32_u24_dpp v52, v26, v10 row_newbcast:10 row_mask:0xf bank_mask:0xf// 000000004E28: 106814FA FF015A1A
	v_mul_u32_u24_dpp v53, v26, v10 row_newbcast:11 row_mask:0xf bank_mask:0xf// 000000004E30: 106A14FA FF015B1A
	v_mul_u32_u24_dpp v54, v26, v10 row_newbcast:12 row_mask:0xf bank_mask:0xf// 000000004E38: 106C14FA FF015C1A
	v_mul_u32_u24_dpp v55, v26, v10 row_newbcast:13 row_mask:0xf bank_mask:0xf// 000000004E40: 106E14FA FF015D1A
	v_mul_u32_u24_dpp v56, v26, v10 row_newbcast:14 row_mask:0xf bank_mask:0xf// 000000004E48: 107014FA FF015E1A
	v_mul_u32_u24_dpp v57, v26, v10 row_newbcast:15 row_mask:0xf bank_mask:0xf// 000000004E50: 107214FA FF015F1A
	v_add_u32_dpp v42, v29, v42 row_newbcast:0 row_mask:0xf bank_mask:0xf// 000000004E58: 685454FA FF01501D
	v_add_u32_dpp v43, v29, v43 row_newbcast:1 row_mask:0xf bank_mask:0xf// 000000004E60: 685656FA FF01511D
	v_add_u32_dpp v44, v29, v44 row_newbcast:2 row_mask:0xf bank_mask:0xf// 000000004E68: 685858FA FF01521D
	v_add_u32_dpp v45, v29, v45 row_newbcast:3 row_mask:0xf bank_mask:0xf// 000000004E70: 685A5AFA FF01531D
	v_add_u32_dpp v46, v29, v46 row_newbcast:4 row_mask:0xf bank_mask:0xf// 000000004E78: 685C5CFA FF01541D
	v_add_u32_dpp v47, v29, v47 row_newbcast:5 row_mask:0xf bank_mask:0xf// 000000004E80: 685E5EFA FF01551D
	v_add_u32_dpp v48, v29, v48 row_newbcast:6 row_mask:0xf bank_mask:0xf// 000000004E88: 686060FA FF01561D
	v_add_u32_dpp v49, v29, v49 row_newbcast:7 row_mask:0xf bank_mask:0xf// 000000004E90: 686262FA FF01571D
	v_add_u32_dpp v50, v29, v50 row_newbcast:8 row_mask:0xf bank_mask:0xf// 000000004E98: 686464FA FF01581D
	v_add_u32_dpp v51, v29, v51 row_newbcast:9 row_mask:0xf bank_mask:0xf// 000000004EA0: 686666FA FF01591D
	v_add_u32_dpp v52, v29, v52 row_newbcast:10 row_mask:0xf bank_mask:0xf// 000000004EA8: 686868FA FF015A1D
	v_add_u32_dpp v53, v29, v53 row_newbcast:11 row_mask:0xf bank_mask:0xf// 000000004EB0: 686A6AFA FF015B1D
	v_add_u32_dpp v54, v29, v54 row_newbcast:12 row_mask:0xf bank_mask:0xf// 000000004EB8: 686C6CFA FF015C1D
	v_add_u32_dpp v55, v29, v55 row_newbcast:13 row_mask:0xf bank_mask:0xf// 000000004EC0: 686E6EFA FF015D1D
	v_add_u32_dpp v56, v29, v56 row_newbcast:14 row_mask:0xf bank_mask:0xf// 000000004EC8: 687070FA FF015E1D
	v_add_u32_dpp v57, v29, v57 row_newbcast:15 row_mask:0xf bank_mask:0xf// 000000004ED0: 687272FA FF015F1D
	s_mov_b32 s56, m0                                          // 000000004ED8: BEB8007C
	s_set_gpr_idx_on s51, gpr_idx(SRC0)                        // 000000004EDC: BF110133
	v_add_u32_e32 v38, v42, v3                                 // 000000004EE0: 684C072A
	v_add_u32_e32 v39, v43, v3                                 // 000000004EE4: 684E072B
	v_add_u32_e32 v40, v44, v3                                 // 000000004EE8: 6850072C
	v_add_u32_e32 v41, v45, v3                                 // 000000004EEC: 6852072D
	s_set_gpr_idx_off                                          // 000000004EF0: BF9C0000
	s_mov_b32 m0, s56                                          // 000000004EF4: BEFC0038
	v_add_u32_e32 v42, v42, v2                                 // 000000004EF8: 6854052A
	v_add_u32_e32 v43, v43, v2                                 // 000000004EFC: 6856052B
	v_add_u32_e32 v44, v44, v2                                 // 000000004F00: 6858052C
	v_add_u32_e32 v45, v45, v2                                 // 000000004F04: 685A052D
	v_add_u32_e32 v46, v46, v2                                 // 000000004F08: 685C052E
	v_add_u32_e32 v47, v47, v2                                 // 000000004F0C: 685E052F
	v_add_u32_e32 v48, v48, v2                                 // 000000004F10: 68600530
	v_add_u32_e32 v49, v49, v2                                 // 000000004F14: 68620531
	v_add_u32_e32 v50, v50, v2                                 // 000000004F18: 68640532
	v_add_u32_e32 v51, v51, v2                                 // 000000004F1C: 68660533
	v_add_u32_e32 v52, v52, v2                                 // 000000004F20: 68680534
	v_add_u32_e32 v53, v53, v2                                 // 000000004F24: 686A0535
	v_add_u32_e32 v54, v54, v2                                 // 000000004F28: 686C0536
	v_add_u32_e32 v55, v55, v2                                 // 000000004F2C: 686E0537
	v_add_u32_e32 v56, v56, v2                                 // 000000004F30: 68700538
	v_add_u32_e32 v57, v57, v2                                 // 000000004F34: 68720539
	s_waitcnt lgkmcnt(0)                                       // 000000004F38: BF8CC07F
	s_waitcnt vmcnt(37)                                        // 000000004F3C: BF8C8F75
	v_mfma_f32_16x16x32_fp8_fp8 v[90:93], a[108:109], v[82:83], v[90:93]// 000000004F40: D3F3005A 0D6AA56C
	v_mfma_f32_16x16x32_fp8_fp8 v[90:93], a[110:111], v[84:85], v[90:93]// 000000004F48: D3F3005A 0D6AA96E
	ds_write_b32 v22, v170                                     // 000000004F50: D81A0000 0000AA16
	ds_write_b32 v22, v171 offset:64                           // 000000004F58: D81A0040 0000AB16
	v_mfma_f32_16x16x32_fp8_fp8 v[94:97], a[112:113], v[82:83], v[94:97]// 000000004F60: D3F3005E 0D7AA570
	v_mfma_f32_16x16x32_fp8_fp8 v[94:97], a[114:115], v[84:85], v[94:97]// 000000004F68: D3F3005E 0D7AA972
	ds_write_b32 v22, v172 offset:4128                         // 000000004F70: D81A1020 0000AC16
	ds_write_b32 v22, v173 offset:4192                         // 000000004F78: D81A1060 0000AD16
	v_mfma_f32_16x16x32_fp8_fp8 v[98:101], a[116:117], v[82:83], v[98:101]// 000000004F80: D3F30062 0D8AA574
	v_mfma_f32_16x16x32_fp8_fp8 v[98:101], a[118:119], v[84:85], v[98:101]// 000000004F88: D3F30062 0D8AA976
	ds_write_b32 v22, v174 offset:8256                         // 000000004F90: D81A2040 0000AE16
	ds_write_b32 v22, v175 offset:8320                         // 000000004F98: D81A2080 0000AF16
	v_mfma_f32_16x16x32_fp8_fp8 v[102:105], a[120:121], v[82:83], v[102:105]// 000000004FA0: D3F30066 0D9AA578
	v_mfma_f32_16x16x32_fp8_fp8 v[102:105], a[122:123], v[84:85], v[102:105]// 000000004FA8: D3F30066 0D9AA97A
	ds_write_b32 v22, v176 offset:12384                        // 000000004FB0: D81A3060 0000B016
	ds_write_b32 v22, v177 offset:12448                        // 000000004FB8: D81A30A0 0000B116
	v_mfma_f32_16x16x32_fp8_fp8 v[106:109], a[124:125], v[82:83], v[106:109]// 000000004FC0: D3F3006A 0DAAA57C
	v_mfma_f32_16x16x32_fp8_fp8 v[106:109], a[126:127], v[84:85], v[106:109]// 000000004FC8: D3F3006A 0DAAA97E
	ds_write_b32 v22, v178 offset:512                          // 000000004FD0: D81A0200 0000B216
	ds_write_b32 v22, v179 offset:576                          // 000000004FD8: D81A0240 0000B316
	v_mfma_f32_16x16x32_fp8_fp8 v[110:113], a[128:129], v[82:83], v[110:113]// 000000004FE0: D3F3006E 0DBAA580
	v_mfma_f32_16x16x32_fp8_fp8 v[110:113], a[130:131], v[84:85], v[110:113]// 000000004FE8: D3F3006E 0DBAA982
	ds_write_b32 v22, v180 offset:4640                         // 000000004FF0: D81A1220 0000B416
	ds_write_b32 v22, v181 offset:4704                         // 000000004FF8: D81A1260 0000B516
	v_mfma_f32_16x16x32_fp8_fp8 v[114:117], a[132:133], v[82:83], v[114:117]// 000000005000: D3F30072 0DCAA584
	v_mfma_f32_16x16x32_fp8_fp8 v[114:117], a[134:135], v[84:85], v[114:117]// 000000005008: D3F30072 0DCAA986
	ds_write_b32 v22, v182 offset:8768                         // 000000005010: D81A2240 0000B616
	ds_write_b32 v22, v183 offset:8832                         // 000000005018: D81A2280 0000B716
	v_mfma_f32_16x16x32_fp8_fp8 v[118:121], a[136:137], v[82:83], v[118:121]// 000000005020: D3F30076 0DDAA588
	v_mfma_f32_16x16x32_fp8_fp8 v[118:121], a[138:139], v[84:85], v[118:121]// 000000005028: D3F30076 0DDAA98A
	ds_write_b32 v22, v184 offset:12896                        // 000000005030: D81A3260 0000B816
	ds_write_b32 v22, v185 offset:12960                        // 000000005038: D81A32A0 0000B916
	ds_read_b64 a[104:105], v25 offset:16512                   // 000000005040: DAEC4080 68000019
	ds_read_b64 a[106:107], v25 offset:16520                   // 000000005048: DAEC4088 6A000019
	v_mfma_f32_16x16x32_fp8_fp8 v[122:125], a[108:109], v[86:87], v[122:125]// 000000005050: D3F3007A 0DEAAD6C
	v_mfma_f32_16x16x32_fp8_fp8 v[122:125], a[110:111], v[88:89], v[122:125]// 000000005058: D3F3007A 0DEAB16E
	s_waitcnt lgkmcnt(4)                                       // 000000005060: BF8CC47F
	s_barrier                                                  // 000000005064: BF8A0000
	v_mfma_f32_16x16x32_fp8_fp8 v[126:129], a[112:113], v[86:87], v[126:129]// 000000005068: D3F3007E 0DFAAD70
	v_mfma_f32_16x16x32_fp8_fp8 v[126:129], a[114:115], v[88:89], v[126:129]// 000000005070: D3F3007E 0DFAB172
	v_mfma_f32_16x16x32_fp8_fp8 v[130:133], a[116:117], v[86:87], v[130:133]// 000000005078: D3F30082 0E0AAD74
	v_mfma_f32_16x16x32_fp8_fp8 v[130:133], a[118:119], v[88:89], v[130:133]// 000000005080: D3F30082 0E0AB176
	v_mfma_f32_16x16x32_fp8_fp8 v[134:137], a[120:121], v[86:87], v[134:137]// 000000005088: D3F30086 0E1AAD78
	v_mfma_f32_16x16x32_fp8_fp8 v[134:137], a[122:123], v[88:89], v[134:137]// 000000005090: D3F30086 0E1AB17A
	v_mfma_f32_16x16x32_fp8_fp8 v[138:141], a[124:125], v[86:87], v[138:141]// 000000005098: D3F3008A 0E2AAD7C
	v_mfma_f32_16x16x32_fp8_fp8 v[138:141], a[126:127], v[88:89], v[138:141]// 0000000050A0: D3F3008A 0E2AB17E
	v_mfma_f32_16x16x32_fp8_fp8 v[142:145], a[128:129], v[86:87], v[142:145]// 0000000050A8: D3F3008E 0E3AAD80
	v_mfma_f32_16x16x32_fp8_fp8 v[142:145], a[130:131], v[88:89], v[142:145]// 0000000050B0: D3F3008E 0E3AB182
	v_mfma_f32_16x16x32_fp8_fp8 v[146:149], a[132:133], v[86:87], v[146:149]// 0000000050B8: D3F30092 0E4AAD84
	v_mfma_f32_16x16x32_fp8_fp8 v[146:149], a[134:135], v[88:89], v[146:149]// 0000000050C0: D3F30092 0E4AB186
	v_mfma_f32_16x16x32_fp8_fp8 v[150:153], a[136:137], v[86:87], v[150:153]// 0000000050C8: D3F30096 0E5AAD88
	v_mfma_f32_16x16x32_fp8_fp8 v[150:153], a[138:139], v[88:89], v[150:153]// 0000000050D0: D3F30096 0E5AB18A
	s_addk_i32 s70, 0x1                                        // 0000000050D8: B7460001
	s_cmp_lt_i32 s70, s71                                      // 0000000050DC: BF044746
	s_cbranch_scc0 label_0B7A                                  // 0000000050E0: BF840001
	s_branch label_042D                                        // 0000000050E4: BF82F8B3

00000000000050e8 <label_0B7A>:
	s_nop 0                                                    // 0000000050E8: BF800000
	s_nop 0                                                    // 0000000050EC: BF800000
	s_branch label_12CA                                        // 0000000050F0: BF82074D

00000000000050f4 <label_0B7D>:
	s_waitcnt vmcnt(16) lgkmcnt(0)                             // 0000000050F4: BF8C4070
	s_barrier                                                  // 0000000050F8: BF8A0000
	v_mfma_f32_16x16x32_fp8_fp8 v[82:85], a[72:73], a[0:1], 0  // 0000000050FC: D3F30052 1A020148
	buffer_load_dword v26, v28, s[24:27], 0 offen              // 000000005104: E0501000 80061A1C
	v_mfma_f32_16x16x32_fp8_fp8 v[82:85], a[74:75], a[2:3], v[82:85]// 00000000510C: D3F30052 1D4A054A
	ds_write_b32 v22, v186                                     // 000000005114: D81A0000 0000BA16
	ds_write_b32 v22, v187 offset:64                           // 00000000511C: D81A0040 0000BB16
	v_mfma_f32_16x16x32_fp8_fp8 v[82:85], a[76:77], a[4:5], v[82:85]// 000000005124: D3F30052 1D4A094C
	v_mfma_f32_16x16x32_fp8_fp8 v[82:85], a[78:79], a[6:7], v[82:85]// 00000000512C: D3F30052 1D4A0D4E
	ds_write_b32 v22, v188 offset:4128                         // 000000005134: D81A1020 0000BC16
	ds_write_b32 v22, v189 offset:4192                         // 00000000513C: D81A1060 0000BD16
	v_mfma_f32_16x16x32_fp8_fp8 v[82:85], a[80:81], a[8:9], v[82:85]// 000000005144: D3F30052 1D4A1150
	v_mfma_f32_16x16x32_fp8_fp8 v[82:85], a[82:83], a[10:11], v[82:85]// 00000000514C: D3F30052 1D4A1552
	ds_write_b32 v22, v190 offset:8256                         // 000000005154: D81A2040 0000BE16
	ds_write_b32 v22, v191 offset:8320                         // 00000000515C: D81A2080 0000BF16
	v_mfma_f32_16x16x32_fp8_fp8 v[82:85], a[84:85], a[12:13], v[82:85]// 000000005164: D3F30052 1D4A1954
	v_mfma_f32_16x16x32_fp8_fp8 v[82:85], a[86:87], a[14:15], v[82:85]// 00000000516C: D3F30052 1D4A1D56
	ds_write_b32 v22, v192 offset:12384                        // 000000005174: D81A3060 0000C016
	ds_write_b32 v22, v193 offset:12448                        // 00000000517C: D81A30A0 0000C116
	v_mfma_f32_16x16x32_fp8_fp8 v[82:85], a[88:89], a[16:17], v[82:85]// 000000005184: D3F30052 1D4A2158
	v_mfma_f32_16x16x32_fp8_fp8 v[82:85], a[90:91], a[18:19], v[82:85]// 00000000518C: D3F30052 1D4A255A
	ds_write_b32 v22, v194 offset:512                          // 000000005194: D81A0200 0000C216
	ds_write_b32 v22, v195 offset:576                          // 00000000519C: D81A0240 0000C316
	v_mfma_f32_16x16x32_fp8_fp8 v[82:85], a[92:93], a[20:21], v[82:85]// 0000000051A4: D3F30052 1D4A295C
	v_mfma_f32_16x16x32_fp8_fp8 v[82:85], a[94:95], a[22:23], v[82:85]// 0000000051AC: D3F30052 1D4A2D5E
	ds_write_b32 v22, v196 offset:4640                         // 0000000051B4: D81A1220 0000C416
	ds_write_b32 v22, v197 offset:4704                         // 0000000051BC: D81A1260 0000C516
	v_mfma_f32_16x16x32_fp8_fp8 v[82:85], a[96:97], a[24:25], v[82:85]// 0000000051C4: D3F30052 1D4A3160
	v_mfma_f32_16x16x32_fp8_fp8 v[82:85], a[98:99], a[26:27], v[82:85]// 0000000051CC: D3F30052 1D4A3562
	ds_write_b32 v22, v198 offset:8768                         // 0000000051D4: D81A2240 0000C616
	ds_write_b32 v22, v199 offset:8832                         // 0000000051DC: D81A2280 0000C716
	v_mfma_f32_16x16x32_fp8_fp8 v[82:85], a[100:101], a[28:29], v[82:85]// 0000000051E4: D3F30052 1D4A3964
	v_mfma_f32_16x16x32_fp8_fp8 v[82:85], a[102:103], a[30:31], v[82:85]// 0000000051EC: D3F30052 1D4A3D66
	ds_write_b32 v22, v200 offset:12896                        // 0000000051F4: D81A3260 0000C816
	ds_write_b32 v22, v201 offset:12960                        // 0000000051FC: D81A32A0 0000C916
	v_mfma_f32_16x16x32_fp8_fp8 v[82:85], a[104:105], a[32:33], v[82:85]// 000000005204: D3F30052 1D4A4168
	buffer_load_dword v74, v38, s[20:23], 0 offen              // 00000000520C: E0501000 80054A26
	buffer_load_dword v75, v39, s[20:23], 0 offen              // 000000005214: E0501000 80054B27
	v_mfma_f32_16x16x32_fp8_fp8 v[82:85], a[106:107], a[34:35], v[82:85]// 00000000521C: D3F30052 1D4A456A
	ds_write_b32 v23, v78 offset:16512                         // 000000005224: D81A4080 00004E17
	ds_write_b32 v23, v79 offset:16584                         // 00000000522C: D81A40C8 00004F17
	v_add_u32_e32 v28, s73, v28                                // 000000005234: 68383849
	v_mfma_f32_16x16x32_fp8_fp8 v[86:89], a[72:73], a[36:37], 0// 000000005238: D3F30056 1A024948
	v_mfma_f32_16x16x32_fp8_fp8 v[86:89], a[74:75], a[38:39], v[86:89]// 000000005240: D3F30056 1D5A4D4A
	v_mfma_f32_16x16x32_fp8_fp8 v[86:89], a[76:77], a[40:41], v[86:89]// 000000005248: D3F30056 1D5A514C
	v_mfma_f32_16x16x32_fp8_fp8 v[86:89], a[78:79], a[42:43], v[86:89]// 000000005250: D3F30056 1D5A554E
	v_mfma_f32_16x16x32_fp8_fp8 v[86:89], a[80:81], a[44:45], v[86:89]// 000000005258: D3F30056 1D5A5950
	v_mfma_f32_16x16x32_fp8_fp8 v[86:89], a[82:83], a[46:47], v[86:89]// 000000005260: D3F30056 1D5A5D52
	v_mfma_f32_16x16x32_fp8_fp8 v[86:89], a[84:85], a[48:49], v[86:89]// 000000005268: D3F30056 1D5A6154
	ds_write_b32 v23, v80 offset:16656                         // 000000005270: D81A4110 00005017
	ds_write_b32 v23, v81 offset:16728                         // 000000005278: D81A4158 00005117
	v_mfma_f32_16x16x32_fp8_fp8 v[86:89], a[86:87], a[50:51], v[86:89]// 000000005280: D3F30056 1D5A6556
	buffer_load_dword v76, v40, s[20:23], 0 offen              // 000000005288: E0501000 80054C28
	buffer_load_dword v77, v41, s[20:23], 0 offen              // 000000005290: E0501000 80054D29
	v_mfma_f32_16x16x32_fp8_fp8 v[86:89], a[88:89], a[52:53], v[86:89]// 000000005298: D3F30056 1D5A6958
	s_waitcnt lgkmcnt(4)                                       // 0000000052A0: BF8CC47F
	s_barrier                                                  // 0000000052A4: BF8A0000
	v_mfma_f32_16x16x32_fp8_fp8 v[86:89], a[90:91], a[54:55], v[86:89]// 0000000052A8: D3F30056 1D5A6D5A
	v_mfma_f32_16x16x32_fp8_fp8 v[86:89], a[92:93], a[56:57], v[86:89]// 0000000052B0: D3F30056 1D5A715C
	v_mfma_f32_16x16x32_fp8_fp8 v[86:89], a[94:95], a[58:59], v[86:89]// 0000000052B8: D3F30056 1D5A755E
	v_mfma_f32_16x16x32_fp8_fp8 v[86:89], a[96:97], a[60:61], v[86:89]// 0000000052C0: D3F30056 1D5A7960
	v_mfma_f32_16x16x32_fp8_fp8 v[86:89], a[98:99], a[62:63], v[86:89]// 0000000052C8: D3F30056 1D5A7D62
	v_mfma_f32_16x16x32_fp8_fp8 v[86:89], a[100:101], a[64:65], v[86:89]// 0000000052D0: D3F30056 1D5A8164
	v_mfma_f32_16x16x32_fp8_fp8 v[86:89], a[102:103], a[66:67], v[86:89]// 0000000052D8: D3F30056 1D5A8566
	v_mfma_f32_16x16x32_fp8_fp8 v[86:89], a[104:105], a[68:69], v[86:89]// 0000000052E0: D3F30056 1D5A8968
	v_mfma_f32_16x16x32_fp8_fp8 v[86:89], a[106:107], a[70:71], v[86:89]// 0000000052E8: D3F30056 1D5A8D6A
	s_cmp_le_i32 s83, s82                                      // 0000000052F0: BF055253
	s_cbranch_scc1 label_0C21                                  // 0000000052F4: BF850023
	s_add_u32 s57, s82, 0                                      // 0000000052F8: 80398052
	v_mov_b32_e32 v38, s57                                     // 0000000052FC: 7E4C0239
	s_sub_u32 s56, s83, 63                                     // 000000005300: 80B8BF53
	s_mul_i32 s57, s7, 16                                      // 000000005304: 92399007
	v_lshrrev_b32_e32 v47, 4, v0                               // 000000005308: 205E0084
	v_mul_i32_i24_e32 v47, 4, v47                              // 00000000530C: 0C5E5E84
	v_add_u32_e32 v47, s56, v47                                // 000000005310: 685E5E38
	v_add_u32_e32 v47, s57, v47                                // 000000005314: 685E5E39
	v_add_u32_e32 v48, 1, v47                                  // 000000005318: 68605E81
	v_add_u32_e32 v49, 2, v47                                  // 00000000531C: 68625E82
	v_add_u32_e32 v50, 3, v47                                  // 000000005320: 68645E83
	v_cmp_le_u32_e64 s[34:35], v47, v38                        // 000000005324: D0CB0022 00024D2F
	v_add_u32_e32 v47, 64, v47                                 // 00000000532C: 685E5EC0
	s_nop 0                                                    // 000000005330: BF800000
	v_cndmask_b32_e64 v82, v11, v82, s[34:35]                  // 000000005334: D1000052 008AA50B
	v_cmp_le_u32_e64 s[34:35], v48, v38                        // 00000000533C: D0CB0022 00024D30
	v_add_u32_e32 v48, 64, v48                                 // 000000005344: 686060C0
	s_nop 0                                                    // 000000005348: BF800000
	v_cndmask_b32_e64 v83, v11, v83, s[34:35]                  // 00000000534C: D1000053 008AA70B
	v_cmp_le_u32_e64 s[34:35], v49, v38                        // 000000005354: D0CB0022 00024D31
	v_add_u32_e32 v49, 64, v49                                 // 00000000535C: 686262C0
	s_nop 0                                                    // 000000005360: BF800000
	v_cndmask_b32_e64 v84, v11, v84, s[34:35]                  // 000000005364: D1000054 008AA90B
	v_cmp_le_u32_e64 s[34:35], v50, v38                        // 00000000536C: D0CB0022 00024D32
	v_add_u32_e32 v50, 64, v50                                 // 000000005374: 686464C0
	s_nop 0                                                    // 000000005378: BF800000
	v_cndmask_b32_e64 v85, v11, v85, s[34:35]                  // 00000000537C: D1000055 008AAB0B

0000000000005384 <label_0C21>:
	v_mov_b32_e32 v8, v82                                      // 000000005384: 7E100352
	v_max3_f32 v8, v82, v83, v8                                // 000000005388: D1D30008 0422A752
	v_max3_f32 v8, v84, v85, v8                                // 000000005390: D1D30008 0422AB54
	ds_write_b32 v5, v8 offset:21120                           // 000000005398: D81A5280 00000805
	v_perm_b32 v34, v156, v154, s54                            // 0000000053A0: D1ED0022 00DB359C
	v_perm_b32 v35, v156, v154, s55                            // 0000000053A8: D1ED0023 00DF359C
	v_perm_b32 v36, v160, v158, s54                            // 0000000053B0: D1ED0024 00DB3DA0
	v_perm_b32 v37, v160, v158, s55                            // 0000000053B8: D1ED0025 00DF3DA0
	v_perm_b32 v218, v36, v34, s53                             // 0000000053C0: D1ED00DA 00D64524
	v_perm_b32 v219, v36, v34, s52                             // 0000000053C8: D1ED00DB 00D24524
	v_perm_b32 v220, v37, v35, s53                             // 0000000053D0: D1ED00DC 00D64725
	v_perm_b32 v221, v37, v35, s52                             // 0000000053D8: D1ED00DD 00D24725
	v_accvgpr_write_b32 a108, v218                             // 0000000053E0: D3D9406C 180001DA
	v_accvgpr_write_b32 a112, v219                             // 0000000053E8: D3D94070 180001DB
	v_accvgpr_write_b32 a116, v220                             // 0000000053F0: D3D94074 180001DC
	v_accvgpr_write_b32 a120, v221                             // 0000000053F8: D3D94078 180001DD
	v_perm_b32 v34, v157, v155, s54                            // 000000005400: D1ED0022 00DB379D
	v_perm_b32 v35, v157, v155, s55                            // 000000005408: D1ED0023 00DF379D
	v_perm_b32 v36, v161, v159, s54                            // 000000005410: D1ED0024 00DB3FA1
	v_perm_b32 v37, v161, v159, s55                            // 000000005418: D1ED0025 00DF3FA1
	v_perm_b32 v218, v36, v34, s53                             // 000000005420: D1ED00DA 00D64524
	v_perm_b32 v219, v36, v34, s52                             // 000000005428: D1ED00DB 00D24524
	v_perm_b32 v220, v37, v35, s53                             // 000000005430: D1ED00DC 00D64725
	v_perm_b32 v221, v37, v35, s52                             // 000000005438: D1ED00DD 00D24725
	v_accvgpr_write_b32 a124, v218                             // 000000005440: D3D9407C 180001DA
	v_accvgpr_write_b32 a128, v219                             // 000000005448: D3D94080 180001DB
	v_accvgpr_write_b32 a132, v220                             // 000000005450: D3D94084 180001DC
	v_accvgpr_write_b32 a136, v221                             // 000000005458: D3D94088 180001DD
	s_waitcnt lgkmcnt(0)                                       // 000000005460: BF8CC07F
	s_barrier                                                  // 000000005464: BF8A0000
	ds_read_b32 v58, v4 offset:21120                           // 000000005468: D86C5280 3A000004
	buffer_load_dword v154, v42, s[20:23], 0 offen             // 000000005470: E0501000 80059A2A
	buffer_load_dword v155, v42, s[20:23], 0 offen offset:64   // 000000005478: E0501040 80059B2A
	ds_read_b32 v59, v4 offset:21184                           // 000000005480: D86C52C0 3B000004
	ds_read_b32 v60, v4 offset:21248                           // 000000005488: D86C5300 3C000004
	ds_read_b32 v61, v4 offset:21312                           // 000000005490: D86C5340 3D000004
	ds_read_b32 v62, v4 offset:21376                           // 000000005498: D86C5380 3E000004
	ds_read_b32 v63, v4 offset:21440                           // 0000000054A0: D86C53C0 3F000004
	ds_read_b32 v64, v4 offset:21504                           // 0000000054A8: D86C5400 40000004
	ds_read_b32 v65, v4 offset:21568                           // 0000000054B0: D86C5440 41000004
	ds_read_b32 v66, v4 offset:21632                           // 0000000054B8: D86C5480 42000004
	buffer_load_dword v156, v43, s[20:23], 0 offen             // 0000000054C0: E0501000 80059C2B
	buffer_load_dword v157, v43, s[20:23], 0 offen offset:64   // 0000000054C8: E0501040 80059D2B
	ds_read_b32 v67, v4 offset:21696                           // 0000000054D0: D86C54C0 43000004
	ds_read_b32 v68, v4 offset:21760                           // 0000000054D8: D86C5500 44000004
	ds_read_b32 v69, v4 offset:21824                           // 0000000054E0: D86C5540 45000004
	ds_read_b32 v70, v4 offset:21888                           // 0000000054E8: D86C5580 46000004
	ds_read_b32 v71, v4 offset:21952                           // 0000000054F0: D86C55C0 47000004
	ds_read_b32 v72, v4 offset:22016                           // 0000000054F8: D86C5600 48000004
	ds_read_b32 v73, v4 offset:22080                           // 000000005500: D86C5640 49000004
	v_perm_b32 v34, v164, v162, s54                            // 000000005508: D1ED0022 00DB45A4
	v_perm_b32 v35, v164, v162, s55                            // 000000005510: D1ED0023 00DF45A4
	v_perm_b32 v36, v168, v166, s54                            // 000000005518: D1ED0024 00DB4DA8
	v_perm_b32 v37, v168, v166, s55                            // 000000005520: D1ED0025 00DF4DA8
	v_perm_b32 v218, v36, v34, s53                             // 000000005528: D1ED00DA 00D64524
	v_perm_b32 v219, v36, v34, s52                             // 000000005530: D1ED00DB 00D24524
	v_perm_b32 v220, v37, v35, s53                             // 000000005538: D1ED00DC 00D64725
	v_perm_b32 v221, v37, v35, s52                             // 000000005540: D1ED00DD 00D24725
	v_accvgpr_write_b32 a109, v218                             // 000000005548: D3D9406D 180001DA
	v_accvgpr_write_b32 a113, v219                             // 000000005550: D3D94071 180001DB
	v_accvgpr_write_b32 a117, v220                             // 000000005558: D3D94075 180001DC
	v_accvgpr_write_b32 a121, v221                             // 000000005560: D3D94079 180001DD
	buffer_load_dword v158, v44, s[20:23], 0 offen             // 000000005568: E0501000 80059E2C
	buffer_load_dword v159, v44, s[20:23], 0 offen offset:64   // 000000005570: E0501040 80059F2C
	v_perm_b32 v34, v165, v163, s54                            // 000000005578: D1ED0022 00DB47A5
	v_perm_b32 v35, v165, v163, s55                            // 000000005580: D1ED0023 00DF47A5
	v_perm_b32 v36, v169, v167, s54                            // 000000005588: D1ED0024 00DB4FA9
	v_perm_b32 v37, v169, v167, s55                            // 000000005590: D1ED0025 00DF4FA9
	v_perm_b32 v218, v36, v34, s53                             // 000000005598: D1ED00DA 00D64524
	v_perm_b32 v219, v36, v34, s52                             // 0000000055A0: D1ED00DB 00D24524
	v_perm_b32 v220, v37, v35, s53                             // 0000000055A8: D1ED00DC 00D64725
	v_perm_b32 v221, v37, v35, s52                             // 0000000055B0: D1ED00DD 00D24725
	v_accvgpr_write_b32 a125, v218                             // 0000000055B8: D3D9407D 180001DA
	v_accvgpr_write_b32 a129, v219                             // 0000000055C0: D3D94081 180001DB
	v_accvgpr_write_b32 a133, v220                             // 0000000055C8: D3D94085 180001DC
	v_accvgpr_write_b32 a137, v221                             // 0000000055D0: D3D94089 180001DD
	s_waitcnt lgkmcnt(0)                                       // 0000000055D8: BF8CC07F
	v_max3_f32 v8, v58, v59, v8                                // 0000000055DC: D1D30008 0422773A
	v_max3_f32 v8, v60, v61, v8                                // 0000000055E4: D1D30008 04227B3C
	v_max3_f32 v8, v62, v63, v8                                // 0000000055EC: D1D30008 04227F3E
	v_max3_f32 v8, v64, v65, v8                                // 0000000055F4: D1D30008 04228340
	v_max3_f32 v8, v66, v67, v8                                // 0000000055FC: D1D30008 04228742
	v_max3_f32 v8, v68, v69, v8                                // 000000005604: D1D30008 04228B44
	v_max3_f32 v8, v70, v71, v8                                // 00000000560C: D1D30008 04228F46
	v_max3_f32 v8, v72, v73, v8                                // 000000005614: D1D30008 04229348
	buffer_load_dword v160, v45, s[20:23], 0 offen             // 00000000561C: E0501000 8005A02D
	buffer_load_dword v161, v45, s[20:23], 0 offen offset:64   // 000000005624: E0501040 8005A12D
	v_cmp_eq_u32_e64 s[34:35], v11, v12                        // 00000000562C: D0CA0022 0002190B
	v_max_f32_e32 v14, v8, v12                                 // 000000005634: 161C1908
	v_sub_f32_e32 v20, v12, v14                                // 000000005638: 04281D0C
	v_cndmask_b32_e64 v20, v20, 0, s[34:35]                    // 00000000563C: D1000014 00890114
	v_mov_b32_e32 v12, v14                                     // 000000005644: 7E18030E
	v_mul_f32_e32 v9, s5, v14                                  // 000000005648: 0A121C05
	v_mul_f32_e32 v20, s5, v20                                 // 00000000564C: 0A282805
	v_exp_f32_e32 v20, v20                                     // 000000005650: 7E284114
	buffer_load_dword v162, v46, s[20:23], 0 offen             // 000000005654: E0501000 8005A22E
	buffer_load_dword v163, v46, s[20:23], 0 offen offset:64   // 00000000565C: E0501040 8005A32E
	v_fma_f32 v82, v82, s5, -v9                                // 000000005664: D1CB0052 84240B52
	v_fma_f32 v83, v83, s5, -v9                                // 00000000566C: D1CB0053 84240B53
	v_fma_f32 v84, v84, s5, -v9                                // 000000005674: D1CB0054 84240B54
	v_fma_f32 v85, v85, s5, -v9                                // 00000000567C: D1CB0055 84240B55
	v_exp_f32_e32 v82, v82                                     // 000000005684: 7EA44152
	v_exp_f32_e32 v83, v83                                     // 000000005688: 7EA64153
	v_exp_f32_e32 v84, v84                                     // 00000000568C: 7EA84154
	v_exp_f32_e32 v85, v85                                     // 000000005690: 7EAA4155
	buffer_load_dword v164, v47, s[20:23], 0 offen             // 000000005694: E0501000 8005A42F
	buffer_load_dword v165, v47, s[20:23], 0 offen offset:64   // 00000000569C: E0501040 8005A52F
	v_mul_f32_e32 v15, v20, v15                                // 0000000056A4: 0A1E1F14
	v_mov_b32_e32 v17, v82                                     // 0000000056A8: 7E220352
	v_add_f32_e32 v17, v83, v17                                // 0000000056AC: 02222353
	v_add_f32_e32 v17, v84, v17                                // 0000000056B0: 02222354
	v_add_f32_e32 v17, v85, v17                                // 0000000056B4: 02222355
	v_add_f32_e32 v15, v17, v15                                // 0000000056B8: 021E1F11
	buffer_load_dword v166, v48, s[20:23], 0 offen             // 0000000056BC: E0501000 8005A630
	buffer_load_dword v167, v48, s[20:23], 0 offen offset:64   // 0000000056C4: E0501040 8005A730
	v_cvt_pk_fp8_f32 v82, v82, v83                             // 0000000056CC: D2A20052 0002A752
	v_cvt_pk_fp8_f32 v82, v84, v85 op_sel:[0,0,1]              // 0000000056D4: D2A24052 0002AB54
	ds_write_b32 v7, v82                                       // 0000000056DC: D81A0000 00005207
	buffer_load_dword v168, v49, s[20:23], 0 offen             // 0000000056E4: E0501000 8005A831
	buffer_load_dword v169, v49, s[20:23], 0 offen offset:64   // 0000000056EC: E0501040 8005A931
	s_waitcnt lgkmcnt(0)                                       // 0000000056F4: BF8CC07F
	s_barrier                                                  // 0000000056F8: BF8A0000
	ds_read_b64 v[82:83], v6                                   // 0000000056FC: D8EC0000 52000006
	ds_read_b64 v[84:85], v6 offset:32                         // 000000005704: D8EC0020 54000006
	v_mov_b32_e32 v34, v20                                     // 00000000570C: 7E440314
	v_mov_b32_e32 v35, v20                                     // 000000005710: 7E460314
	v_pk_mul_f32 v[90:91], v[34:35], v[90:91]                  // 000000005714: D3B1405A 1802B522
	v_pk_mul_f32 v[92:93], v[34:35], v[92:93]                  // 00000000571C: D3B1405C 1802B922
	v_pk_mul_f32 v[94:95], v[34:35], v[94:95]                  // 000000005724: D3B1405E 1802BD22
	v_pk_mul_f32 v[96:97], v[34:35], v[96:97]                  // 00000000572C: D3B14060 1802C122
	v_pk_mul_f32 v[98:99], v[34:35], v[98:99]                  // 000000005734: D3B14062 1802C522
	v_pk_mul_f32 v[100:101], v[34:35], v[100:101]              // 00000000573C: D3B14064 1802C922
	v_pk_mul_f32 v[102:103], v[34:35], v[102:103]              // 000000005744: D3B14066 1802CD22
	v_pk_mul_f32 v[104:105], v[34:35], v[104:105]              // 00000000574C: D3B14068 1802D122
	v_pk_mul_f32 v[106:107], v[34:35], v[106:107]              // 000000005754: D3B1406A 1802D522
	v_pk_mul_f32 v[108:109], v[34:35], v[108:109]              // 00000000575C: D3B1406C 1802D922
	v_pk_mul_f32 v[110:111], v[34:35], v[110:111]              // 000000005764: D3B1406E 1802DD22
	v_pk_mul_f32 v[112:113], v[34:35], v[112:113]              // 00000000576C: D3B14070 1802E122
	v_pk_mul_f32 v[114:115], v[34:35], v[114:115]              // 000000005774: D3B14072 1802E522
	v_pk_mul_f32 v[116:117], v[34:35], v[116:117]              // 00000000577C: D3B14074 1802E922
	v_pk_mul_f32 v[118:119], v[34:35], v[118:119]              // 000000005784: D3B14076 1802ED22
	v_pk_mul_f32 v[120:121], v[34:35], v[120:121]              // 00000000578C: D3B14078 1802F122
	s_waitcnt lgkmcnt(0)                                       // 000000005794: BF8CC07F
	s_cmp_le_i32 s83, s82                                      // 000000005798: BF055253
	s_cbranch_scc1 label_0D4B                                  // 00000000579C: BF850023
	s_add_u32 s57, s82, 1                                      // 0000000057A0: 80398152
	v_mov_b32_e32 v38, s57                                     // 0000000057A4: 7E4C0239
	s_sub_u32 s56, s83, 63                                     // 0000000057A8: 80B8BF53
	s_mul_i32 s57, s7, 16                                      // 0000000057AC: 92399007
	v_lshrrev_b32_e32 v47, 4, v0                               // 0000000057B0: 205E0084
	v_mul_i32_i24_e32 v47, 4, v47                              // 0000000057B4: 0C5E5E84
	v_add_u32_e32 v47, s56, v47                                // 0000000057B8: 685E5E38
	v_add_u32_e32 v47, s57, v47                                // 0000000057BC: 685E5E39
	v_add_u32_e32 v48, 1, v47                                  // 0000000057C0: 68605E81
	v_add_u32_e32 v49, 2, v47                                  // 0000000057C4: 68625E82
	v_add_u32_e32 v50, 3, v47                                  // 0000000057C8: 68645E83
	v_cmp_le_u32_e64 s[34:35], v47, v38                        // 0000000057CC: D0CB0022 00024D2F
	v_add_u32_e32 v47, 64, v47                                 // 0000000057D4: 685E5EC0
	s_nop 0                                                    // 0000000057D8: BF800000
	v_cndmask_b32_e64 v86, v11, v86, s[34:35]                  // 0000000057DC: D1000056 008AAD0B
	v_cmp_le_u32_e64 s[34:35], v48, v38                        // 0000000057E4: D0CB0022 00024D30
	v_add_u32_e32 v48, 64, v48                                 // 0000000057EC: 686060C0
	s_nop 0                                                    // 0000000057F0: BF800000
	v_cndmask_b32_e64 v87, v11, v87, s[34:35]                  // 0000000057F4: D1000057 008AAF0B
	v_cmp_le_u32_e64 s[34:35], v49, v38                        // 0000000057FC: D0CB0022 00024D31
	v_add_u32_e32 v49, 64, v49                                 // 000000005804: 686262C0
	s_nop 0                                                    // 000000005808: BF800000
	v_cndmask_b32_e64 v88, v11, v88, s[34:35]                  // 00000000580C: D1000058 008AB10B
	v_cmp_le_u32_e64 s[34:35], v50, v38                        // 000000005814: D0CB0022 00024D32
	v_add_u32_e32 v50, 64, v50                                 // 00000000581C: 686464C0
	s_nop 0                                                    // 000000005820: BF800000
	v_cndmask_b32_e64 v89, v11, v89, s[34:35]                  // 000000005824: D1000059 008AB30B

000000000000582c <label_0D4B>:
	s_add_u32 s83, s84, s83                                    // 00000000582C: 80535354
	v_mov_b32_e32 v8, v86                                      // 000000005830: 7E100356
	v_max3_f32 v8, v86, v87, v8                                // 000000005834: D1D30008 0422AF56
	v_max3_f32 v8, v88, v89, v8                                // 00000000583C: D1D30008 0422B358
	ds_write_b32 v5, v8 offset:21120                           // 000000005844: D81A5280 00000805
	v_perm_b32 v34, v172, v170, s54                            // 00000000584C: D1ED0022 00DB55AC
	v_perm_b32 v35, v172, v170, s55                            // 000000005854: D1ED0023 00DF55AC
	v_perm_b32 v36, v176, v174, s54                            // 00000000585C: D1ED0024 00DB5DB0
	v_perm_b32 v37, v176, v174, s55                            // 000000005864: D1ED0025 00DF5DB0
	v_perm_b32 v218, v36, v34, s53                             // 00000000586C: D1ED00DA 00D64524
	v_perm_b32 v219, v36, v34, s52                             // 000000005874: D1ED00DB 00D24524
	v_perm_b32 v220, v37, v35, s53                             // 00000000587C: D1ED00DC 00D64725
	v_perm_b32 v221, v37, v35, s52                             // 000000005884: D1ED00DD 00D24725
	v_accvgpr_write_b32 a110, v218                             // 00000000588C: D3D9406E 180001DA
	v_accvgpr_write_b32 a114, v219                             // 000000005894: D3D94072 180001DB
	v_accvgpr_write_b32 a118, v220                             // 00000000589C: D3D94076 180001DC
	v_accvgpr_write_b32 a122, v221                             // 0000000058A4: D3D9407A 180001DD
	v_perm_b32 v34, v173, v171, s54                            // 0000000058AC: D1ED0022 00DB57AD
	v_perm_b32 v35, v173, v171, s55                            // 0000000058B4: D1ED0023 00DF57AD
	v_perm_b32 v36, v177, v175, s54                            // 0000000058BC: D1ED0024 00DB5FB1
	v_perm_b32 v37, v177, v175, s55                            // 0000000058C4: D1ED0025 00DF5FB1
	v_perm_b32 v218, v36, v34, s53                             // 0000000058CC: D1ED00DA 00D64524
	v_perm_b32 v219, v36, v34, s52                             // 0000000058D4: D1ED00DB 00D24524
	v_perm_b32 v220, v37, v35, s53                             // 0000000058DC: D1ED00DC 00D64725
	v_perm_b32 v221, v37, v35, s52                             // 0000000058E4: D1ED00DD 00D24725
	v_accvgpr_write_b32 a126, v218                             // 0000000058EC: D3D9407E 180001DA
	v_accvgpr_write_b32 a130, v219                             // 0000000058F4: D3D94082 180001DB
	v_accvgpr_write_b32 a134, v220                             // 0000000058FC: D3D94086 180001DC
	v_accvgpr_write_b32 a138, v221                             // 000000005904: D3D9408A 180001DD
	s_waitcnt lgkmcnt(0)                                       // 00000000590C: BF8CC07F
	s_barrier                                                  // 000000005910: BF8A0000
	ds_read_b32 v58, v4 offset:21120                           // 000000005914: D86C5280 3A000004
	buffer_load_dword v170, v50, s[20:23], 0 offen             // 00000000591C: E0501000 8005AA32
	buffer_load_dword v171, v50, s[20:23], 0 offen offset:64   // 000000005924: E0501040 8005AB32
	ds_read_b32 v59, v4 offset:21184                           // 00000000592C: D86C52C0 3B000004
	ds_read_b32 v60, v4 offset:21248                           // 000000005934: D86C5300 3C000004
	ds_read_b32 v61, v4 offset:21312                           // 00000000593C: D86C5340 3D000004
	ds_read_b32 v62, v4 offset:21376                           // 000000005944: D86C5380 3E000004
	ds_read_b32 v63, v4 offset:21440                           // 00000000594C: D86C53C0 3F000004
	ds_read_b32 v64, v4 offset:21504                           // 000000005954: D86C5400 40000004
	ds_read_b32 v65, v4 offset:21568                           // 00000000595C: D86C5440 41000004
	ds_read_b32 v66, v4 offset:21632                           // 000000005964: D86C5480 42000004
	buffer_load_dword v172, v51, s[20:23], 0 offen             // 00000000596C: E0501000 8005AC33
	buffer_load_dword v173, v51, s[20:23], 0 offen offset:64   // 000000005974: E0501040 8005AD33
	ds_read_b32 v67, v4 offset:21696                           // 00000000597C: D86C54C0 43000004
	ds_read_b32 v68, v4 offset:21760                           // 000000005984: D86C5500 44000004
	ds_read_b32 v69, v4 offset:21824                           // 00000000598C: D86C5540 45000004
	ds_read_b32 v70, v4 offset:21888                           // 000000005994: D86C5580 46000004
	ds_read_b32 v71, v4 offset:21952                           // 00000000599C: D86C55C0 47000004
	ds_read_b32 v72, v4 offset:22016                           // 0000000059A4: D86C5600 48000004
	ds_read_b32 v73, v4 offset:22080                           // 0000000059AC: D86C5640 49000004
	v_perm_b32 v34, v180, v178, s54                            // 0000000059B4: D1ED0022 00DB65B4
	v_perm_b32 v35, v180, v178, s55                            // 0000000059BC: D1ED0023 00DF65B4
	v_perm_b32 v36, v184, v182, s54                            // 0000000059C4: D1ED0024 00DB6DB8
	v_perm_b32 v37, v184, v182, s55                            // 0000000059CC: D1ED0025 00DF6DB8
	v_perm_b32 v218, v36, v34, s53                             // 0000000059D4: D1ED00DA 00D64524
	v_perm_b32 v219, v36, v34, s52                             // 0000000059DC: D1ED00DB 00D24524
	v_perm_b32 v220, v37, v35, s53                             // 0000000059E4: D1ED00DC 00D64725
	v_perm_b32 v221, v37, v35, s52                             // 0000000059EC: D1ED00DD 00D24725
	v_accvgpr_write_b32 a111, v218                             // 0000000059F4: D3D9406F 180001DA
	v_accvgpr_write_b32 a115, v219                             // 0000000059FC: D3D94073 180001DB
	v_accvgpr_write_b32 a119, v220                             // 000000005A04: D3D94077 180001DC
	v_accvgpr_write_b32 a123, v221                             // 000000005A0C: D3D9407B 180001DD
	buffer_load_dword v174, v52, s[20:23], 0 offen             // 000000005A14: E0501000 8005AE34
	buffer_load_dword v175, v52, s[20:23], 0 offen offset:64   // 000000005A1C: E0501040 8005AF34
	v_perm_b32 v34, v181, v179, s54                            // 000000005A24: D1ED0022 00DB67B5
	v_perm_b32 v35, v181, v179, s55                            // 000000005A2C: D1ED0023 00DF67B5
	v_perm_b32 v36, v185, v183, s54                            // 000000005A34: D1ED0024 00DB6FB9
	v_perm_b32 v37, v185, v183, s55                            // 000000005A3C: D1ED0025 00DF6FB9
	v_perm_b32 v218, v36, v34, s53                             // 000000005A44: D1ED00DA 00D64524
	v_perm_b32 v219, v36, v34, s52                             // 000000005A4C: D1ED00DB 00D24524
	v_perm_b32 v220, v37, v35, s53                             // 000000005A54: D1ED00DC 00D64725
	v_perm_b32 v221, v37, v35, s52                             // 000000005A5C: D1ED00DD 00D24725
	v_accvgpr_write_b32 a127, v218                             // 000000005A64: D3D9407F 180001DA
	v_accvgpr_write_b32 a131, v219                             // 000000005A6C: D3D94083 180001DB
	v_accvgpr_write_b32 a135, v220                             // 000000005A74: D3D94087 180001DC
	v_accvgpr_write_b32 a139, v221                             // 000000005A7C: D3D9408B 180001DD
	s_waitcnt lgkmcnt(0)                                       // 000000005A84: BF8CC07F
	v_max3_f32 v8, v58, v59, v8                                // 000000005A88: D1D30008 0422773A
	v_max3_f32 v8, v60, v61, v8                                // 000000005A90: D1D30008 04227B3C
	v_max3_f32 v8, v62, v63, v8                                // 000000005A98: D1D30008 04227F3E
	v_max3_f32 v8, v64, v65, v8                                // 000000005AA0: D1D30008 04228340
	v_max3_f32 v8, v66, v67, v8                                // 000000005AA8: D1D30008 04228742
	v_max3_f32 v8, v68, v69, v8                                // 000000005AB0: D1D30008 04228B44
	v_max3_f32 v8, v70, v71, v8                                // 000000005AB8: D1D30008 04228F46
	v_max3_f32 v8, v72, v73, v8                                // 000000005AC0: D1D30008 04229348
	buffer_load_dword v176, v53, s[20:23], 0 offen             // 000000005AC8: E0501000 8005B035
	buffer_load_dword v177, v53, s[20:23], 0 offen offset:64   // 000000005AD0: E0501040 8005B135
	v_cmp_eq_u32_e64 s[34:35], v11, v13                        // 000000005AD8: D0CA0022 00021B0B
	v_max_f32_e32 v14, v8, v13                                 // 000000005AE0: 161C1B08
	v_sub_f32_e32 v21, v13, v14                                // 000000005AE4: 042A1D0D
	v_cndmask_b32_e64 v21, v21, 0, s[34:35]                    // 000000005AE8: D1000015 00890115
	v_mov_b32_e32 v13, v14                                     // 000000005AF0: 7E1A030E
	v_mul_f32_e32 v9, s5, v14                                  // 000000005AF4: 0A121C05
	v_mul_f32_e32 v21, s5, v21                                 // 000000005AF8: 0A2A2A05
	v_exp_f32_e32 v21, v21                                     // 000000005AFC: 7E2A4115
	buffer_load_dword v178, v54, s[20:23], 0 offen             // 000000005B00: E0501000 8005B236
	buffer_load_dword v179, v54, s[20:23], 0 offen offset:64   // 000000005B08: E0501040 8005B336
	v_fma_f32 v86, v86, s5, -v9                                // 000000005B10: D1CB0056 84240B56
	v_fma_f32 v87, v87, s5, -v9                                // 000000005B18: D1CB0057 84240B57
	v_fma_f32 v88, v88, s5, -v9                                // 000000005B20: D1CB0058 84240B58
	v_fma_f32 v89, v89, s5, -v9                                // 000000005B28: D1CB0059 84240B59
	v_exp_f32_e32 v86, v86                                     // 000000005B30: 7EAC4156
	v_exp_f32_e32 v87, v87                                     // 000000005B34: 7EAE4157
	v_exp_f32_e32 v88, v88                                     // 000000005B38: 7EB04158
	v_exp_f32_e32 v89, v89                                     // 000000005B3C: 7EB24159
	buffer_load_dword v180, v55, s[20:23], 0 offen             // 000000005B40: E0501000 8005B437
	buffer_load_dword v181, v55, s[20:23], 0 offen offset:64   // 000000005B48: E0501040 8005B537
	v_mul_f32_e32 v16, v21, v16                                // 000000005B50: 0A202115
	v_mov_b32_e32 v17, v86                                     // 000000005B54: 7E220356
	v_add_f32_e32 v17, v87, v17                                // 000000005B58: 02222357
	v_add_f32_e32 v17, v88, v17                                // 000000005B5C: 02222358
	v_add_f32_e32 v17, v89, v17                                // 000000005B60: 02222359
	v_add_f32_e32 v16, v17, v16                                // 000000005B64: 02202111
	buffer_load_dword v182, v56, s[20:23], 0 offen             // 000000005B68: E0501000 8005B638
	buffer_load_dword v183, v56, s[20:23], 0 offen offset:64   // 000000005B70: E0501040 8005B738
	v_cvt_pk_fp8_f32 v86, v86, v87                             // 000000005B78: D2A20056 0002AF56
	v_cvt_pk_fp8_f32 v86, v88, v89 op_sel:[0,0,1]              // 000000005B80: D2A24056 0002B358
	ds_write_b32 v7, v86                                       // 000000005B88: D81A0000 00005607
	buffer_load_dword v184, v57, s[20:23], 0 offen             // 000000005B90: E0501000 8005B839
	buffer_load_dword v185, v57, s[20:23], 0 offen offset:64   // 000000005B98: E0501040 8005B939
	v_mov_b32_e32 v34, v21                                     // 000000005BA0: 7E440315
	v_mov_b32_e32 v35, v21                                     // 000000005BA4: 7E460315
	v_pk_mul_f32 v[122:123], v[34:35], v[122:123]              // 000000005BA8: D3B1407A 1802F522
	v_pk_mul_f32 v[124:125], v[34:35], v[124:125]              // 000000005BB0: D3B1407C 1802F922
	v_pk_mul_f32 v[126:127], v[34:35], v[126:127]              // 000000005BB8: D3B1407E 1802FD22
	v_pk_mul_f32 v[128:129], v[34:35], v[128:129]              // 000000005BC0: D3B14080 18030122
	v_pk_mul_f32 v[130:131], v[34:35], v[130:131]              // 000000005BC8: D3B14082 18030522
	v_pk_mul_f32 v[132:133], v[34:35], v[132:133]              // 000000005BD0: D3B14084 18030922
	v_pk_mul_f32 v[134:135], v[34:35], v[134:135]              // 000000005BD8: D3B14086 18030D22
	v_pk_mul_f32 v[136:137], v[34:35], v[136:137]              // 000000005BE0: D3B14088 18031122
	v_pk_mul_f32 v[138:139], v[34:35], v[138:139]              // 000000005BE8: D3B1408A 18031522
	v_pk_mul_f32 v[140:141], v[34:35], v[140:141]              // 000000005BF0: D3B1408C 18031922
	v_pk_mul_f32 v[142:143], v[34:35], v[142:143]              // 000000005BF8: D3B1408E 18031D22
	v_pk_mul_f32 v[144:145], v[34:35], v[144:145]              // 000000005C00: D3B14090 18032122
	v_pk_mul_f32 v[146:147], v[34:35], v[146:147]              // 000000005C08: D3B14092 18032522
	v_pk_mul_f32 v[148:149], v[34:35], v[148:149]              // 000000005C10: D3B14094 18032922
	v_pk_mul_f32 v[150:151], v[34:35], v[150:151]              // 000000005C18: D3B14096 18032D22
	v_pk_mul_f32 v[152:153], v[34:35], v[152:153]              // 000000005C20: D3B14098 18033122
	s_waitcnt lgkmcnt(0)                                       // 000000005C28: BF8CC07F
	s_barrier                                                  // 000000005C2C: BF8A0000
	ds_read_b64 v[86:87], v6                                   // 000000005C30: D8EC0000 56000006
	ds_read_b64 v[88:89], v6 offset:32                         // 000000005C38: D8EC0020 58000006
	v_mul_u32_u24_dpp v42, v27, v10 row_newbcast:0 row_mask:0xf bank_mask:0xf// 000000005C40: 105414FA FF01501B
	v_mul_u32_u24_dpp v43, v27, v10 row_newbcast:1 row_mask:0xf bank_mask:0xf// 000000005C48: 105614FA FF01511B
	v_mul_u32_u24_dpp v44, v27, v10 row_newbcast:2 row_mask:0xf bank_mask:0xf// 000000005C50: 105814FA FF01521B
	v_mul_u32_u24_dpp v45, v27, v10 row_newbcast:3 row_mask:0xf bank_mask:0xf// 000000005C58: 105A14FA FF01531B
	v_mul_u32_u24_dpp v46, v27, v10 row_newbcast:4 row_mask:0xf bank_mask:0xf// 000000005C60: 105C14FA FF01541B
	v_mul_u32_u24_dpp v47, v27, v10 row_newbcast:5 row_mask:0xf bank_mask:0xf// 000000005C68: 105E14FA FF01551B
	v_mul_u32_u24_dpp v48, v27, v10 row_newbcast:6 row_mask:0xf bank_mask:0xf// 000000005C70: 106014FA FF01561B
	v_mul_u32_u24_dpp v49, v27, v10 row_newbcast:7 row_mask:0xf bank_mask:0xf// 000000005C78: 106214FA FF01571B
	v_mul_u32_u24_dpp v50, v27, v10 row_newbcast:8 row_mask:0xf bank_mask:0xf// 000000005C80: 106414FA FF01581B
	v_mul_u32_u24_dpp v51, v27, v10 row_newbcast:9 row_mask:0xf bank_mask:0xf// 000000005C88: 106614FA FF01591B
	v_mul_u32_u24_dpp v52, v27, v10 row_newbcast:10 row_mask:0xf bank_mask:0xf// 000000005C90: 106814FA FF015A1B
	v_mul_u32_u24_dpp v53, v27, v10 row_newbcast:11 row_mask:0xf bank_mask:0xf// 000000005C98: 106A14FA FF015B1B
	v_mul_u32_u24_dpp v54, v27, v10 row_newbcast:12 row_mask:0xf bank_mask:0xf// 000000005CA0: 106C14FA FF015C1B
	v_mul_u32_u24_dpp v55, v27, v10 row_newbcast:13 row_mask:0xf bank_mask:0xf// 000000005CA8: 106E14FA FF015D1B
	v_mul_u32_u24_dpp v56, v27, v10 row_newbcast:14 row_mask:0xf bank_mask:0xf// 000000005CB0: 107014FA FF015E1B
	v_mul_u32_u24_dpp v57, v27, v10 row_newbcast:15 row_mask:0xf bank_mask:0xf// 000000005CB8: 107214FA FF015F1B
	v_add_u32_dpp v42, v29, v42 row_newbcast:0 row_mask:0xf bank_mask:0xf// 000000005CC0: 685454FA FF01501D
	v_add_u32_dpp v43, v29, v43 row_newbcast:1 row_mask:0xf bank_mask:0xf// 000000005CC8: 685656FA FF01511D
	v_add_u32_dpp v44, v29, v44 row_newbcast:2 row_mask:0xf bank_mask:0xf// 000000005CD0: 685858FA FF01521D
	v_add_u32_dpp v45, v29, v45 row_newbcast:3 row_mask:0xf bank_mask:0xf// 000000005CD8: 685A5AFA FF01531D
	v_add_u32_dpp v46, v29, v46 row_newbcast:4 row_mask:0xf bank_mask:0xf// 000000005CE0: 685C5CFA FF01541D
	v_add_u32_dpp v47, v29, v47 row_newbcast:5 row_mask:0xf bank_mask:0xf// 000000005CE8: 685E5EFA FF01551D
	v_add_u32_dpp v48, v29, v48 row_newbcast:6 row_mask:0xf bank_mask:0xf// 000000005CF0: 686060FA FF01561D
	v_add_u32_dpp v49, v29, v49 row_newbcast:7 row_mask:0xf bank_mask:0xf// 000000005CF8: 686262FA FF01571D
	v_add_u32_dpp v50, v29, v50 row_newbcast:8 row_mask:0xf bank_mask:0xf// 000000005D00: 686464FA FF01581D
	v_add_u32_dpp v51, v29, v51 row_newbcast:9 row_mask:0xf bank_mask:0xf// 000000005D08: 686666FA FF01591D
	v_add_u32_dpp v52, v29, v52 row_newbcast:10 row_mask:0xf bank_mask:0xf// 000000005D10: 686868FA FF015A1D
	v_add_u32_dpp v53, v29, v53 row_newbcast:11 row_mask:0xf bank_mask:0xf// 000000005D18: 686A6AFA FF015B1D
	v_add_u32_dpp v54, v29, v54 row_newbcast:12 row_mask:0xf bank_mask:0xf// 000000005D20: 686C6CFA FF015C1D
	v_add_u32_dpp v55, v29, v55 row_newbcast:13 row_mask:0xf bank_mask:0xf// 000000005D28: 686E6EFA FF015D1D
	v_add_u32_dpp v56, v29, v56 row_newbcast:14 row_mask:0xf bank_mask:0xf// 000000005D30: 687070FA FF015E1D
	v_add_u32_dpp v57, v29, v57 row_newbcast:15 row_mask:0xf bank_mask:0xf// 000000005D38: 687272FA FF015F1D
	s_mov_b32 s56, m0                                          // 000000005D40: BEB8007C
	s_set_gpr_idx_on s51, gpr_idx(SRC0)                        // 000000005D44: BF110133
	v_add_u32_e32 v38, v42, v3                                 // 000000005D48: 684C072A
	v_add_u32_e32 v39, v43, v3                                 // 000000005D4C: 684E072B
	v_add_u32_e32 v40, v44, v3                                 // 000000005D50: 6850072C
	v_add_u32_e32 v41, v45, v3                                 // 000000005D54: 6852072D
	s_set_gpr_idx_off                                          // 000000005D58: BF9C0000
	s_mov_b32 m0, s56                                          // 000000005D5C: BEFC0038
	v_add_u32_e32 v42, v42, v2                                 // 000000005D60: 6854052A
	v_add_u32_e32 v43, v43, v2                                 // 000000005D64: 6856052B
	v_add_u32_e32 v44, v44, v2                                 // 000000005D68: 6858052C
	v_add_u32_e32 v45, v45, v2                                 // 000000005D6C: 685A052D
	v_add_u32_e32 v46, v46, v2                                 // 000000005D70: 685C052E
	v_add_u32_e32 v47, v47, v2                                 // 000000005D74: 685E052F
	v_add_u32_e32 v48, v48, v2                                 // 000000005D78: 68600530
	v_add_u32_e32 v49, v49, v2                                 // 000000005D7C: 68620531
	v_add_u32_e32 v50, v50, v2                                 // 000000005D80: 68640532
	v_add_u32_e32 v51, v51, v2                                 // 000000005D84: 68660533
	v_add_u32_e32 v52, v52, v2                                 // 000000005D88: 68680534
	v_add_u32_e32 v53, v53, v2                                 // 000000005D8C: 686A0535
	v_add_u32_e32 v54, v54, v2                                 // 000000005D90: 686C0536
	v_add_u32_e32 v55, v55, v2                                 // 000000005D94: 686E0537
	v_add_u32_e32 v56, v56, v2                                 // 000000005D98: 68700538
	v_add_u32_e32 v57, v57, v2                                 // 000000005D9C: 68720539
	s_waitcnt lgkmcnt(0)                                       // 000000005DA0: BF8CC07F
	s_waitcnt vmcnt(37)                                        // 000000005DA4: BF8C8F75
	v_mfma_f32_16x16x32_fp8_fp8 v[90:93], a[108:109], v[82:83], v[90:93]// 000000005DA8: D3F3005A 0D6AA56C
	ds_write_b32 v22, v202                                     // 000000005DB0: D81A0000 0000CA16
	ds_write_b32 v22, v203 offset:64                           // 000000005DB8: D81A0040 0000CB16
	v_mfma_f32_16x16x32_fp8_fp8 v[90:93], a[110:111], v[84:85], v[90:93]// 000000005DC0: D3F3005A 0D6AA96E
	v_mfma_f32_16x16x32_fp8_fp8 v[94:97], a[112:113], v[82:83], v[94:97]// 000000005DC8: D3F3005E 0D7AA570
	ds_write_b32 v22, v204 offset:4128                         // 000000005DD0: D81A1020 0000CC16
	ds_write_b32 v22, v205 offset:4192                         // 000000005DD8: D81A1060 0000CD16
	v_mfma_f32_16x16x32_fp8_fp8 v[94:97], a[114:115], v[84:85], v[94:97]// 000000005DE0: D3F3005E 0D7AA972
	v_mfma_f32_16x16x32_fp8_fp8 v[98:101], a[116:117], v[82:83], v[98:101]// 000000005DE8: D3F30062 0D8AA574
	ds_write_b32 v22, v206 offset:8256                         // 000000005DF0: D81A2040 0000CE16
	ds_write_b32 v22, v207 offset:8320                         // 000000005DF8: D81A2080 0000CF16
	v_mfma_f32_16x16x32_fp8_fp8 v[98:101], a[118:119], v[84:85], v[98:101]// 000000005E00: D3F30062 0D8AA976
	v_mfma_f32_16x16x32_fp8_fp8 v[102:105], a[120:121], v[82:83], v[102:105]// 000000005E08: D3F30066 0D9AA578
	ds_write_b32 v22, v208 offset:12384                        // 000000005E10: D81A3060 0000D016
	ds_write_b32 v22, v209 offset:12448                        // 000000005E18: D81A30A0 0000D116
	v_mfma_f32_16x16x32_fp8_fp8 v[102:105], a[122:123], v[84:85], v[102:105]// 000000005E20: D3F30066 0D9AA97A
	v_mfma_f32_16x16x32_fp8_fp8 v[106:109], a[124:125], v[82:83], v[106:109]// 000000005E28: D3F3006A 0DAAA57C
	ds_write_b32 v22, v210 offset:512                          // 000000005E30: D81A0200 0000D216
	ds_write_b32 v22, v211 offset:576                          // 000000005E38: D81A0240 0000D316
	v_mfma_f32_16x16x32_fp8_fp8 v[106:109], a[126:127], v[84:85], v[106:109]// 000000005E40: D3F3006A 0DAAA97E
	v_mfma_f32_16x16x32_fp8_fp8 v[110:113], a[128:129], v[82:83], v[110:113]// 000000005E48: D3F3006E 0DBAA580
	ds_write_b32 v22, v212 offset:4640                         // 000000005E50: D81A1220 0000D416
	ds_write_b32 v22, v213 offset:4704                         // 000000005E58: D81A1260 0000D516
	v_mfma_f32_16x16x32_fp8_fp8 v[110:113], a[130:131], v[84:85], v[110:113]// 000000005E60: D3F3006E 0DBAA982
	v_mfma_f32_16x16x32_fp8_fp8 v[114:117], a[132:133], v[82:83], v[114:117]// 000000005E68: D3F30072 0DCAA584
	ds_write_b32 v22, v214 offset:8768                         // 000000005E70: D81A2240 0000D616
	ds_write_b32 v22, v215 offset:8832                         // 000000005E78: D81A2280 0000D716
	v_mfma_f32_16x16x32_fp8_fp8 v[114:117], a[134:135], v[84:85], v[114:117]// 000000005E80: D3F30072 0DCAA986
	v_mfma_f32_16x16x32_fp8_fp8 v[118:121], a[136:137], v[82:83], v[118:121]// 000000005E88: D3F30076 0DDAA588
	ds_write_b32 v22, v216 offset:12896                        // 000000005E90: D81A3260 0000D816
	ds_write_b32 v22, v217 offset:12960                        // 000000005E98: D81A32A0 0000D916
	v_mfma_f32_16x16x32_fp8_fp8 v[118:121], a[138:139], v[84:85], v[118:121]// 000000005EA0: D3F30076 0DDAA98A
	ds_read_b64 a[104:105], v25 offset:16512                   // 000000005EA8: DAEC4080 68000019
	ds_read_b64 a[106:107], v25 offset:16520                   // 000000005EB0: DAEC4088 6A000019
	v_mfma_f32_16x16x32_fp8_fp8 v[122:125], a[108:109], v[86:87], v[122:125]// 000000005EB8: D3F3007A 0DEAAD6C
	v_mfma_f32_16x16x32_fp8_fp8 v[122:125], a[110:111], v[88:89], v[122:125]// 000000005EC0: D3F3007A 0DEAB16E
	s_waitcnt lgkmcnt(4)                                       // 000000005EC8: BF8CC47F
	s_barrier                                                  // 000000005ECC: BF8A0000
	v_mfma_f32_16x16x32_fp8_fp8 v[126:129], a[112:113], v[86:87], v[126:129]// 000000005ED0: D3F3007E 0DFAAD70
	ds_read_b128 a[72:75], v24                                 // 000000005ED8: DBFE0000 48000018
	v_mfma_f32_16x16x32_fp8_fp8 v[126:129], a[114:115], v[88:89], v[126:129]// 000000005EE0: D3F3007E 0DFAB172
	ds_read_b128 a[76:79], v24 offset:64                       // 000000005EE8: DBFE0040 4C000018
	v_mfma_f32_16x16x32_fp8_fp8 v[130:133], a[116:117], v[86:87], v[130:133]// 000000005EF0: D3F30082 0E0AAD74
	ds_read_b128 a[80:83], v24 offset:128                      // 000000005EF8: DBFE0080 50000018
	v_mfma_f32_16x16x32_fp8_fp8 v[130:133], a[118:119], v[88:89], v[130:133]// 000000005F00: D3F30082 0E0AB176
	ds_read_b128 a[84:87], v24 offset:192                      // 000000005F08: DBFE00C0 54000018
	v_mfma_f32_16x16x32_fp8_fp8 v[134:137], a[120:121], v[86:87], v[134:137]// 000000005F10: D3F30086 0E1AAD78
	ds_read_b128 a[88:91], v24 offset:256                      // 000000005F18: DBFE0100 58000018
	v_mfma_f32_16x16x32_fp8_fp8 v[134:137], a[122:123], v[88:89], v[134:137]// 000000005F20: D3F30086 0E1AB17A
	ds_read_b128 a[92:95], v24 offset:320                      // 000000005F28: DBFE0140 5C000018
	v_mfma_f32_16x16x32_fp8_fp8 v[138:141], a[124:125], v[86:87], v[138:141]// 000000005F30: D3F3008A 0E2AAD7C
	ds_read_b128 a[96:99], v24 offset:384                      // 000000005F38: DBFE0180 60000018
	v_mfma_f32_16x16x32_fp8_fp8 v[138:141], a[126:127], v[88:89], v[138:141]// 000000005F40: D3F3008A 0E2AB17E
	ds_read_b128 a[100:103], v24 offset:448                    // 000000005F48: DBFE01C0 64000018
	v_mfma_f32_16x16x32_fp8_fp8 v[142:145], a[128:129], v[86:87], v[142:145]// 000000005F50: D3F3008E 0E3AAD80
	v_mfma_f32_16x16x32_fp8_fp8 v[142:145], a[130:131], v[88:89], v[142:145]// 000000005F58: D3F3008E 0E3AB182
	v_mfma_f32_16x16x32_fp8_fp8 v[146:149], a[132:133], v[86:87], v[146:149]// 000000005F60: D3F30092 0E4AAD84
	v_mfma_f32_16x16x32_fp8_fp8 v[146:149], a[134:135], v[88:89], v[146:149]// 000000005F68: D3F30092 0E4AB186
	v_mfma_f32_16x16x32_fp8_fp8 v[150:153], a[136:137], v[86:87], v[150:153]// 000000005F70: D3F30096 0E5AAD88
	v_mfma_f32_16x16x32_fp8_fp8 v[150:153], a[138:139], v[88:89], v[150:153]// 000000005F78: D3F30096 0E5AB18A
	s_addk_i32 s70, 0x1                                        // 000000005F80: B7460001
	s_cmp_lt_i32 s70, s71                                      // 000000005F84: BF044746
	s_cbranch_scc0 label_0B7A                                  // 000000005F88: BF84FC57
	s_waitcnt vmcnt(16) lgkmcnt(0)                             // 000000005F8C: BF8C4070
	s_barrier                                                  // 000000005F90: BF8A0000
	v_mfma_f32_16x16x32_fp8_fp8 v[82:85], a[72:73], a[0:1], 0  // 000000005F94: D3F30052 1A020148
	buffer_load_dword v27, v28, s[24:27], 0 offen              // 000000005F9C: E0501000 80061B1C
	v_mfma_f32_16x16x32_fp8_fp8 v[82:85], a[74:75], a[2:3], v[82:85]// 000000005FA4: D3F30052 1D4A054A
	ds_write_b32 v22, v154                                     // 000000005FAC: D81A0000 00009A16
	ds_write_b32 v22, v155 offset:64                           // 000000005FB4: D81A0040 00009B16
	v_mfma_f32_16x16x32_fp8_fp8 v[82:85], a[76:77], a[4:5], v[82:85]// 000000005FBC: D3F30052 1D4A094C
	v_mfma_f32_16x16x32_fp8_fp8 v[82:85], a[78:79], a[6:7], v[82:85]// 000000005FC4: D3F30052 1D4A0D4E
	ds_write_b32 v22, v156 offset:4128                         // 000000005FCC: D81A1020 00009C16
	ds_write_b32 v22, v157 offset:4192                         // 000000005FD4: D81A1060 00009D16
	v_mfma_f32_16x16x32_fp8_fp8 v[82:85], a[80:81], a[8:9], v[82:85]// 000000005FDC: D3F30052 1D4A1150
	v_mfma_f32_16x16x32_fp8_fp8 v[82:85], a[82:83], a[10:11], v[82:85]// 000000005FE4: D3F30052 1D4A1552
	ds_write_b32 v22, v158 offset:8256                         // 000000005FEC: D81A2040 00009E16
	ds_write_b32 v22, v159 offset:8320                         // 000000005FF4: D81A2080 00009F16
	v_mfma_f32_16x16x32_fp8_fp8 v[82:85], a[84:85], a[12:13], v[82:85]// 000000005FFC: D3F30052 1D4A1954
	v_mfma_f32_16x16x32_fp8_fp8 v[82:85], a[86:87], a[14:15], v[82:85]// 000000006004: D3F30052 1D4A1D56
	ds_write_b32 v22, v160 offset:12384                        // 00000000600C: D81A3060 0000A016
	ds_write_b32 v22, v161 offset:12448                        // 000000006014: D81A30A0 0000A116
	v_mfma_f32_16x16x32_fp8_fp8 v[82:85], a[88:89], a[16:17], v[82:85]// 00000000601C: D3F30052 1D4A2158
	v_mfma_f32_16x16x32_fp8_fp8 v[82:85], a[90:91], a[18:19], v[82:85]// 000000006024: D3F30052 1D4A255A
	ds_write_b32 v22, v162 offset:512                          // 00000000602C: D81A0200 0000A216
	ds_write_b32 v22, v163 offset:576                          // 000000006034: D81A0240 0000A316
	v_mfma_f32_16x16x32_fp8_fp8 v[82:85], a[92:93], a[20:21], v[82:85]// 00000000603C: D3F30052 1D4A295C
	v_mfma_f32_16x16x32_fp8_fp8 v[82:85], a[94:95], a[22:23], v[82:85]// 000000006044: D3F30052 1D4A2D5E
	ds_write_b32 v22, v164 offset:4640                         // 00000000604C: D81A1220 0000A416
	ds_write_b32 v22, v165 offset:4704                         // 000000006054: D81A1260 0000A516
	v_mfma_f32_16x16x32_fp8_fp8 v[82:85], a[96:97], a[24:25], v[82:85]// 00000000605C: D3F30052 1D4A3160
	v_mfma_f32_16x16x32_fp8_fp8 v[82:85], a[98:99], a[26:27], v[82:85]// 000000006064: D3F30052 1D4A3562
	ds_write_b32 v22, v166 offset:8768                         // 00000000606C: D81A2240 0000A616
	ds_write_b32 v22, v167 offset:8832                         // 000000006074: D81A2280 0000A716
	v_mfma_f32_16x16x32_fp8_fp8 v[82:85], a[100:101], a[28:29], v[82:85]// 00000000607C: D3F30052 1D4A3964
	v_mfma_f32_16x16x32_fp8_fp8 v[82:85], a[102:103], a[30:31], v[82:85]// 000000006084: D3F30052 1D4A3D66
	ds_write_b32 v22, v168 offset:12896                        // 00000000608C: D81A3260 0000A816
	ds_write_b32 v22, v169 offset:12960                        // 000000006094: D81A32A0 0000A916
	v_mfma_f32_16x16x32_fp8_fp8 v[82:85], a[104:105], a[32:33], v[82:85]// 00000000609C: D3F30052 1D4A4168
	buffer_load_dword v78, v38, s[20:23], 0 offen              // 0000000060A4: E0501000 80054E26
	buffer_load_dword v79, v39, s[20:23], 0 offen              // 0000000060AC: E0501000 80054F27
	v_mfma_f32_16x16x32_fp8_fp8 v[82:85], a[106:107], a[34:35], v[82:85]// 0000000060B4: D3F30052 1D4A456A
	ds_write_b32 v23, v74 offset:16512                         // 0000000060BC: D81A4080 00004A17
	ds_write_b32 v23, v75 offset:16584                         // 0000000060C4: D81A40C8 00004B17
	v_add_u32_e32 v28, s73, v28                                // 0000000060CC: 68383849
	v_mfma_f32_16x16x32_fp8_fp8 v[86:89], a[72:73], a[36:37], 0// 0000000060D0: D3F30056 1A024948
	v_mfma_f32_16x16x32_fp8_fp8 v[86:89], a[74:75], a[38:39], v[86:89]// 0000000060D8: D3F30056 1D5A4D4A
	v_mfma_f32_16x16x32_fp8_fp8 v[86:89], a[76:77], a[40:41], v[86:89]// 0000000060E0: D3F30056 1D5A514C
	v_mfma_f32_16x16x32_fp8_fp8 v[86:89], a[78:79], a[42:43], v[86:89]// 0000000060E8: D3F30056 1D5A554E
	v_mfma_f32_16x16x32_fp8_fp8 v[86:89], a[80:81], a[44:45], v[86:89]// 0000000060F0: D3F30056 1D5A5950
	v_mfma_f32_16x16x32_fp8_fp8 v[86:89], a[82:83], a[46:47], v[86:89]// 0000000060F8: D3F30056 1D5A5D52
	v_mfma_f32_16x16x32_fp8_fp8 v[86:89], a[84:85], a[48:49], v[86:89]// 000000006100: D3F30056 1D5A6154
	ds_write_b32 v23, v76 offset:16656                         // 000000006108: D81A4110 00004C17
	ds_write_b32 v23, v77 offset:16728                         // 000000006110: D81A4158 00004D17
	v_mfma_f32_16x16x32_fp8_fp8 v[86:89], a[86:87], a[50:51], v[86:89]// 000000006118: D3F30056 1D5A6556
	buffer_load_dword v80, v40, s[20:23], 0 offen              // 000000006120: E0501000 80055028
	buffer_load_dword v81, v41, s[20:23], 0 offen              // 000000006128: E0501000 80055129
	v_mfma_f32_16x16x32_fp8_fp8 v[86:89], a[88:89], a[52:53], v[86:89]// 000000006130: D3F30056 1D5A6958
	s_waitcnt lgkmcnt(4)                                       // 000000006138: BF8CC47F
	s_barrier                                                  // 00000000613C: BF8A0000
	v_mfma_f32_16x16x32_fp8_fp8 v[86:89], a[90:91], a[54:55], v[86:89]// 000000006140: D3F30056 1D5A6D5A
	v_mfma_f32_16x16x32_fp8_fp8 v[86:89], a[92:93], a[56:57], v[86:89]// 000000006148: D3F30056 1D5A715C
	v_mfma_f32_16x16x32_fp8_fp8 v[86:89], a[94:95], a[58:59], v[86:89]// 000000006150: D3F30056 1D5A755E
	v_mfma_f32_16x16x32_fp8_fp8 v[86:89], a[96:97], a[60:61], v[86:89]// 000000006158: D3F30056 1D5A7960
	v_mfma_f32_16x16x32_fp8_fp8 v[86:89], a[98:99], a[62:63], v[86:89]// 000000006160: D3F30056 1D5A7D62
	v_mfma_f32_16x16x32_fp8_fp8 v[86:89], a[100:101], a[64:65], v[86:89]// 000000006168: D3F30056 1D5A8164
	v_mfma_f32_16x16x32_fp8_fp8 v[86:89], a[102:103], a[66:67], v[86:89]// 000000006170: D3F30056 1D5A8566
	v_mfma_f32_16x16x32_fp8_fp8 v[86:89], a[104:105], a[68:69], v[86:89]// 000000006178: D3F30056 1D5A8968
	v_mfma_f32_16x16x32_fp8_fp8 v[86:89], a[106:107], a[70:71], v[86:89]// 000000006180: D3F30056 1D5A8D6A
	s_cmp_le_i32 s83, s82                                      // 000000006188: BF055253
	s_cbranch_scc1 label_0FC7                                  // 00000000618C: BF850023
	s_add_u32 s57, s82, 0                                      // 000000006190: 80398052
	v_mov_b32_e32 v38, s57                                     // 000000006194: 7E4C0239
	s_sub_u32 s56, s83, 63                                     // 000000006198: 80B8BF53
	s_mul_i32 s57, s7, 16                                      // 00000000619C: 92399007
	v_lshrrev_b32_e32 v47, 4, v0                               // 0000000061A0: 205E0084
	v_mul_i32_i24_e32 v47, 4, v47                              // 0000000061A4: 0C5E5E84
	v_add_u32_e32 v47, s56, v47                                // 0000000061A8: 685E5E38
	v_add_u32_e32 v47, s57, v47                                // 0000000061AC: 685E5E39
	v_add_u32_e32 v48, 1, v47                                  // 0000000061B0: 68605E81
	v_add_u32_e32 v49, 2, v47                                  // 0000000061B4: 68625E82
	v_add_u32_e32 v50, 3, v47                                  // 0000000061B8: 68645E83
	v_cmp_le_u32_e64 s[34:35], v47, v38                        // 0000000061BC: D0CB0022 00024D2F
	v_add_u32_e32 v47, 64, v47                                 // 0000000061C4: 685E5EC0
	s_nop 0                                                    // 0000000061C8: BF800000
	v_cndmask_b32_e64 v82, v11, v82, s[34:35]                  // 0000000061CC: D1000052 008AA50B
	v_cmp_le_u32_e64 s[34:35], v48, v38                        // 0000000061D4: D0CB0022 00024D30
	v_add_u32_e32 v48, 64, v48                                 // 0000000061DC: 686060C0
	s_nop 0                                                    // 0000000061E0: BF800000
	v_cndmask_b32_e64 v83, v11, v83, s[34:35]                  // 0000000061E4: D1000053 008AA70B
	v_cmp_le_u32_e64 s[34:35], v49, v38                        // 0000000061EC: D0CB0022 00024D31
	v_add_u32_e32 v49, 64, v49                                 // 0000000061F4: 686262C0
	s_nop 0                                                    // 0000000061F8: BF800000
	v_cndmask_b32_e64 v84, v11, v84, s[34:35]                  // 0000000061FC: D1000054 008AA90B
	v_cmp_le_u32_e64 s[34:35], v50, v38                        // 000000006204: D0CB0022 00024D32
	v_add_u32_e32 v50, 64, v50                                 // 00000000620C: 686464C0
	s_nop 0                                                    // 000000006210: BF800000
	v_cndmask_b32_e64 v85, v11, v85, s[34:35]                  // 000000006214: D1000055 008AAB0B

000000000000621c <label_0FC7>:
	v_mov_b32_e32 v8, v82                                      // 00000000621C: 7E100352
	v_max3_f32 v8, v82, v83, v8                                // 000000006220: D1D30008 0422A752
	v_max3_f32 v8, v84, v85, v8                                // 000000006228: D1D30008 0422AB54
	ds_write_b32 v5, v8 offset:21120                           // 000000006230: D81A5280 00000805
	v_perm_b32 v34, v188, v186, s54                            // 000000006238: D1ED0022 00DB75BC
	v_perm_b32 v35, v188, v186, s55                            // 000000006240: D1ED0023 00DF75BC
	v_perm_b32 v36, v192, v190, s54                            // 000000006248: D1ED0024 00DB7DC0
	v_perm_b32 v37, v192, v190, s55                            // 000000006250: D1ED0025 00DF7DC0
	v_perm_b32 v218, v36, v34, s53                             // 000000006258: D1ED00DA 00D64524
	v_perm_b32 v219, v36, v34, s52                             // 000000006260: D1ED00DB 00D24524
	v_perm_b32 v220, v37, v35, s53                             // 000000006268: D1ED00DC 00D64725
	v_perm_b32 v221, v37, v35, s52                             // 000000006270: D1ED00DD 00D24725
	v_accvgpr_write_b32 a108, v218                             // 000000006278: D3D9406C 180001DA
	v_accvgpr_write_b32 a112, v219                             // 000000006280: D3D94070 180001DB
	v_accvgpr_write_b32 a116, v220                             // 000000006288: D3D94074 180001DC
	v_accvgpr_write_b32 a120, v221                             // 000000006290: D3D94078 180001DD
	v_perm_b32 v34, v189, v187, s54                            // 000000006298: D1ED0022 00DB77BD
	v_perm_b32 v35, v189, v187, s55                            // 0000000062A0: D1ED0023 00DF77BD
	v_perm_b32 v36, v193, v191, s54                            // 0000000062A8: D1ED0024 00DB7FC1
	v_perm_b32 v37, v193, v191, s55                            // 0000000062B0: D1ED0025 00DF7FC1
	v_perm_b32 v218, v36, v34, s53                             // 0000000062B8: D1ED00DA 00D64524
	v_perm_b32 v219, v36, v34, s52                             // 0000000062C0: D1ED00DB 00D24524
	v_perm_b32 v220, v37, v35, s53                             // 0000000062C8: D1ED00DC 00D64725
	v_perm_b32 v221, v37, v35, s52                             // 0000000062D0: D1ED00DD 00D24725
	v_accvgpr_write_b32 a124, v218                             // 0000000062D8: D3D9407C 180001DA
	v_accvgpr_write_b32 a128, v219                             // 0000000062E0: D3D94080 180001DB
	v_accvgpr_write_b32 a132, v220                             // 0000000062E8: D3D94084 180001DC
	v_accvgpr_write_b32 a136, v221                             // 0000000062F0: D3D94088 180001DD
	s_waitcnt lgkmcnt(0)                                       // 0000000062F8: BF8CC07F
	s_barrier                                                  // 0000000062FC: BF8A0000
	ds_read_b32 v58, v4 offset:21120                           // 000000006300: D86C5280 3A000004
	buffer_load_dword v186, v42, s[20:23], 0 offen             // 000000006308: E0501000 8005BA2A
	buffer_load_dword v187, v42, s[20:23], 0 offen offset:64   // 000000006310: E0501040 8005BB2A
	ds_read_b32 v59, v4 offset:21184                           // 000000006318: D86C52C0 3B000004
	ds_read_b32 v60, v4 offset:21248                           // 000000006320: D86C5300 3C000004
	ds_read_b32 v61, v4 offset:21312                           // 000000006328: D86C5340 3D000004
	ds_read_b32 v62, v4 offset:21376                           // 000000006330: D86C5380 3E000004
	ds_read_b32 v63, v4 offset:21440                           // 000000006338: D86C53C0 3F000004
	ds_read_b32 v64, v4 offset:21504                           // 000000006340: D86C5400 40000004
	ds_read_b32 v65, v4 offset:21568                           // 000000006348: D86C5440 41000004
	ds_read_b32 v66, v4 offset:21632                           // 000000006350: D86C5480 42000004
	buffer_load_dword v188, v43, s[20:23], 0 offen             // 000000006358: E0501000 8005BC2B
	buffer_load_dword v189, v43, s[20:23], 0 offen offset:64   // 000000006360: E0501040 8005BD2B
	ds_read_b32 v67, v4 offset:21696                           // 000000006368: D86C54C0 43000004
	ds_read_b32 v68, v4 offset:21760                           // 000000006370: D86C5500 44000004
	ds_read_b32 v69, v4 offset:21824                           // 000000006378: D86C5540 45000004
	ds_read_b32 v70, v4 offset:21888                           // 000000006380: D86C5580 46000004
	ds_read_b32 v71, v4 offset:21952                           // 000000006388: D86C55C0 47000004
	ds_read_b32 v72, v4 offset:22016                           // 000000006390: D86C5600 48000004
	ds_read_b32 v73, v4 offset:22080                           // 000000006398: D86C5640 49000004
	v_perm_b32 v34, v196, v194, s54                            // 0000000063A0: D1ED0022 00DB85C4
	v_perm_b32 v35, v196, v194, s55                            // 0000000063A8: D1ED0023 00DF85C4
	v_perm_b32 v36, v200, v198, s54                            // 0000000063B0: D1ED0024 00DB8DC8
	v_perm_b32 v37, v200, v198, s55                            // 0000000063B8: D1ED0025 00DF8DC8
	v_perm_b32 v218, v36, v34, s53                             // 0000000063C0: D1ED00DA 00D64524
	v_perm_b32 v219, v36, v34, s52                             // 0000000063C8: D1ED00DB 00D24524
	v_perm_b32 v220, v37, v35, s53                             // 0000000063D0: D1ED00DC 00D64725
	v_perm_b32 v221, v37, v35, s52                             // 0000000063D8: D1ED00DD 00D24725
	v_accvgpr_write_b32 a109, v218                             // 0000000063E0: D3D9406D 180001DA
	v_accvgpr_write_b32 a113, v219                             // 0000000063E8: D3D94071 180001DB
	v_accvgpr_write_b32 a117, v220                             // 0000000063F0: D3D94075 180001DC
	v_accvgpr_write_b32 a121, v221                             // 0000000063F8: D3D94079 180001DD
	buffer_load_dword v190, v44, s[20:23], 0 offen             // 000000006400: E0501000 8005BE2C
	buffer_load_dword v191, v44, s[20:23], 0 offen offset:64   // 000000006408: E0501040 8005BF2C
	v_perm_b32 v34, v197, v195, s54                            // 000000006410: D1ED0022 00DB87C5
	v_perm_b32 v35, v197, v195, s55                            // 000000006418: D1ED0023 00DF87C5
	v_perm_b32 v36, v201, v199, s54                            // 000000006420: D1ED0024 00DB8FC9
	v_perm_b32 v37, v201, v199, s55                            // 000000006428: D1ED0025 00DF8FC9
	v_perm_b32 v218, v36, v34, s53                             // 000000006430: D1ED00DA 00D64524
	v_perm_b32 v219, v36, v34, s52                             // 000000006438: D1ED00DB 00D24524
	v_perm_b32 v220, v37, v35, s53                             // 000000006440: D1ED00DC 00D64725
	v_perm_b32 v221, v37, v35, s52                             // 000000006448: D1ED00DD 00D24725
	v_accvgpr_write_b32 a125, v218                             // 000000006450: D3D9407D 180001DA
	v_accvgpr_write_b32 a129, v219                             // 000000006458: D3D94081 180001DB
	v_accvgpr_write_b32 a133, v220                             // 000000006460: D3D94085 180001DC
	v_accvgpr_write_b32 a137, v221                             // 000000006468: D3D94089 180001DD
	s_waitcnt lgkmcnt(0)                                       // 000000006470: BF8CC07F
	v_max3_f32 v8, v58, v59, v8                                // 000000006474: D1D30008 0422773A
	v_max3_f32 v8, v60, v61, v8                                // 00000000647C: D1D30008 04227B3C
	v_max3_f32 v8, v62, v63, v8                                // 000000006484: D1D30008 04227F3E
	v_max3_f32 v8, v64, v65, v8                                // 00000000648C: D1D30008 04228340
	v_max3_f32 v8, v66, v67, v8                                // 000000006494: D1D30008 04228742
	v_max3_f32 v8, v68, v69, v8                                // 00000000649C: D1D30008 04228B44
	v_max3_f32 v8, v70, v71, v8                                // 0000000064A4: D1D30008 04228F46
	v_max3_f32 v8, v72, v73, v8                                // 0000000064AC: D1D30008 04229348
	buffer_load_dword v192, v45, s[20:23], 0 offen             // 0000000064B4: E0501000 8005C02D
	buffer_load_dword v193, v45, s[20:23], 0 offen offset:64   // 0000000064BC: E0501040 8005C12D
	v_cmp_eq_u32_e64 s[34:35], v11, v12                        // 0000000064C4: D0CA0022 0002190B
	v_max_f32_e32 v14, v8, v12                                 // 0000000064CC: 161C1908
	v_sub_f32_e32 v20, v12, v14                                // 0000000064D0: 04281D0C
	v_cndmask_b32_e64 v20, v20, 0, s[34:35]                    // 0000000064D4: D1000014 00890114
	v_mov_b32_e32 v12, v14                                     // 0000000064DC: 7E18030E
	v_mul_f32_e32 v9, s5, v14                                  // 0000000064E0: 0A121C05
	v_mul_f32_e32 v20, s5, v20                                 // 0000000064E4: 0A282805
	v_exp_f32_e32 v20, v20                                     // 0000000064E8: 7E284114
	buffer_load_dword v194, v46, s[20:23], 0 offen             // 0000000064EC: E0501000 8005C22E
	buffer_load_dword v195, v46, s[20:23], 0 offen offset:64   // 0000000064F4: E0501040 8005C32E
	v_fma_f32 v82, v82, s5, -v9                                // 0000000064FC: D1CB0052 84240B52
	v_fma_f32 v83, v83, s5, -v9                                // 000000006504: D1CB0053 84240B53
	v_fma_f32 v84, v84, s5, -v9                                // 00000000650C: D1CB0054 84240B54
	v_fma_f32 v85, v85, s5, -v9                                // 000000006514: D1CB0055 84240B55
	v_exp_f32_e32 v82, v82                                     // 00000000651C: 7EA44152
	v_exp_f32_e32 v83, v83                                     // 000000006520: 7EA64153
	v_exp_f32_e32 v84, v84                                     // 000000006524: 7EA84154
	v_exp_f32_e32 v85, v85                                     // 000000006528: 7EAA4155
	buffer_load_dword v196, v47, s[20:23], 0 offen             // 00000000652C: E0501000 8005C42F
	buffer_load_dword v197, v47, s[20:23], 0 offen offset:64   // 000000006534: E0501040 8005C52F
	v_mul_f32_e32 v15, v20, v15                                // 00000000653C: 0A1E1F14
	v_mov_b32_e32 v17, v82                                     // 000000006540: 7E220352
	v_add_f32_e32 v17, v83, v17                                // 000000006544: 02222353
	v_add_f32_e32 v17, v84, v17                                // 000000006548: 02222354
	v_add_f32_e32 v17, v85, v17                                // 00000000654C: 02222355
	v_add_f32_e32 v15, v17, v15                                // 000000006550: 021E1F11
	buffer_load_dword v198, v48, s[20:23], 0 offen             // 000000006554: E0501000 8005C630
	buffer_load_dword v199, v48, s[20:23], 0 offen offset:64   // 00000000655C: E0501040 8005C730
	v_cvt_pk_fp8_f32 v82, v82, v83                             // 000000006564: D2A20052 0002A752
	v_cvt_pk_fp8_f32 v82, v84, v85 op_sel:[0,0,1]              // 00000000656C: D2A24052 0002AB54
	ds_write_b32 v7, v82                                       // 000000006574: D81A0000 00005207
	buffer_load_dword v200, v49, s[20:23], 0 offen             // 00000000657C: E0501000 8005C831
	buffer_load_dword v201, v49, s[20:23], 0 offen offset:64   // 000000006584: E0501040 8005C931
	s_waitcnt lgkmcnt(0)                                       // 00000000658C: BF8CC07F
	s_barrier                                                  // 000000006590: BF8A0000
	ds_read_b64 v[82:83], v6                                   // 000000006594: D8EC0000 52000006
	ds_read_b64 v[84:85], v6 offset:32                         // 00000000659C: D8EC0020 54000006
	v_mov_b32_e32 v34, v20                                     // 0000000065A4: 7E440314
	v_mov_b32_e32 v35, v20                                     // 0000000065A8: 7E460314
	v_pk_mul_f32 v[90:91], v[34:35], v[90:91]                  // 0000000065AC: D3B1405A 1802B522
	v_pk_mul_f32 v[92:93], v[34:35], v[92:93]                  // 0000000065B4: D3B1405C 1802B922
	v_pk_mul_f32 v[94:95], v[34:35], v[94:95]                  // 0000000065BC: D3B1405E 1802BD22
	v_pk_mul_f32 v[96:97], v[34:35], v[96:97]                  // 0000000065C4: D3B14060 1802C122
	v_pk_mul_f32 v[98:99], v[34:35], v[98:99]                  // 0000000065CC: D3B14062 1802C522
	v_pk_mul_f32 v[100:101], v[34:35], v[100:101]              // 0000000065D4: D3B14064 1802C922
	v_pk_mul_f32 v[102:103], v[34:35], v[102:103]              // 0000000065DC: D3B14066 1802CD22
	v_pk_mul_f32 v[104:105], v[34:35], v[104:105]              // 0000000065E4: D3B14068 1802D122
	v_pk_mul_f32 v[106:107], v[34:35], v[106:107]              // 0000000065EC: D3B1406A 1802D522
	v_pk_mul_f32 v[108:109], v[34:35], v[108:109]              // 0000000065F4: D3B1406C 1802D922
	v_pk_mul_f32 v[110:111], v[34:35], v[110:111]              // 0000000065FC: D3B1406E 1802DD22
	v_pk_mul_f32 v[112:113], v[34:35], v[112:113]              // 000000006604: D3B14070 1802E122
	v_pk_mul_f32 v[114:115], v[34:35], v[114:115]              // 00000000660C: D3B14072 1802E522
	v_pk_mul_f32 v[116:117], v[34:35], v[116:117]              // 000000006614: D3B14074 1802E922
	v_pk_mul_f32 v[118:119], v[34:35], v[118:119]              // 00000000661C: D3B14076 1802ED22
	v_pk_mul_f32 v[120:121], v[34:35], v[120:121]              // 000000006624: D3B14078 1802F122
	s_waitcnt lgkmcnt(0)                                       // 00000000662C: BF8CC07F
	s_cmp_le_i32 s83, s82                                      // 000000006630: BF055253
	s_cbranch_scc1 label_10F1                                  // 000000006634: BF850023
	s_add_u32 s57, s82, 1                                      // 000000006638: 80398152
	v_mov_b32_e32 v38, s57                                     // 00000000663C: 7E4C0239
	s_sub_u32 s56, s83, 63                                     // 000000006640: 80B8BF53
	s_mul_i32 s57, s7, 16                                      // 000000006644: 92399007
	v_lshrrev_b32_e32 v47, 4, v0                               // 000000006648: 205E0084
	v_mul_i32_i24_e32 v47, 4, v47                              // 00000000664C: 0C5E5E84
	v_add_u32_e32 v47, s56, v47                                // 000000006650: 685E5E38
	v_add_u32_e32 v47, s57, v47                                // 000000006654: 685E5E39
	v_add_u32_e32 v48, 1, v47                                  // 000000006658: 68605E81
	v_add_u32_e32 v49, 2, v47                                  // 00000000665C: 68625E82
	v_add_u32_e32 v50, 3, v47                                  // 000000006660: 68645E83
	v_cmp_le_u32_e64 s[34:35], v47, v38                        // 000000006664: D0CB0022 00024D2F
	v_add_u32_e32 v47, 64, v47                                 // 00000000666C: 685E5EC0
	s_nop 0                                                    // 000000006670: BF800000
	v_cndmask_b32_e64 v86, v11, v86, s[34:35]                  // 000000006674: D1000056 008AAD0B
	v_cmp_le_u32_e64 s[34:35], v48, v38                        // 00000000667C: D0CB0022 00024D30
	v_add_u32_e32 v48, 64, v48                                 // 000000006684: 686060C0
	s_nop 0                                                    // 000000006688: BF800000
	v_cndmask_b32_e64 v87, v11, v87, s[34:35]                  // 00000000668C: D1000057 008AAF0B
	v_cmp_le_u32_e64 s[34:35], v49, v38                        // 000000006694: D0CB0022 00024D31
	v_add_u32_e32 v49, 64, v49                                 // 00000000669C: 686262C0
	s_nop 0                                                    // 0000000066A0: BF800000
	v_cndmask_b32_e64 v88, v11, v88, s[34:35]                  // 0000000066A4: D1000058 008AB10B
	v_cmp_le_u32_e64 s[34:35], v50, v38                        // 0000000066AC: D0CB0022 00024D32
	v_add_u32_e32 v50, 64, v50                                 // 0000000066B4: 686464C0
	s_nop 0                                                    // 0000000066B8: BF800000
	v_cndmask_b32_e64 v89, v11, v89, s[34:35]                  // 0000000066BC: D1000059 008AB30B

00000000000066c4 <label_10F1>:
	s_add_u32 s83, s84, s83                                    // 0000000066C4: 80535354
	v_mov_b32_e32 v8, v86                                      // 0000000066C8: 7E100356
	v_max3_f32 v8, v86, v87, v8                                // 0000000066CC: D1D30008 0422AF56
	v_max3_f32 v8, v88, v89, v8                                // 0000000066D4: D1D30008 0422B358
	ds_write_b32 v5, v8 offset:21120                           // 0000000066DC: D81A5280 00000805
	v_perm_b32 v34, v204, v202, s54                            // 0000000066E4: D1ED0022 00DB95CC
	v_perm_b32 v35, v204, v202, s55                            // 0000000066EC: D1ED0023 00DF95CC
	v_perm_b32 v36, v208, v206, s54                            // 0000000066F4: D1ED0024 00DB9DD0
	v_perm_b32 v37, v208, v206, s55                            // 0000000066FC: D1ED0025 00DF9DD0
	v_perm_b32 v218, v36, v34, s53                             // 000000006704: D1ED00DA 00D64524
	v_perm_b32 v219, v36, v34, s52                             // 00000000670C: D1ED00DB 00D24524
	v_perm_b32 v220, v37, v35, s53                             // 000000006714: D1ED00DC 00D64725
	v_perm_b32 v221, v37, v35, s52                             // 00000000671C: D1ED00DD 00D24725
	v_accvgpr_write_b32 a110, v218                             // 000000006724: D3D9406E 180001DA
	v_accvgpr_write_b32 a114, v219                             // 00000000672C: D3D94072 180001DB
	v_accvgpr_write_b32 a118, v220                             // 000000006734: D3D94076 180001DC
	v_accvgpr_write_b32 a122, v221                             // 00000000673C: D3D9407A 180001DD
	v_perm_b32 v34, v205, v203, s54                            // 000000006744: D1ED0022 00DB97CD
	v_perm_b32 v35, v205, v203, s55                            // 00000000674C: D1ED0023 00DF97CD
	v_perm_b32 v36, v209, v207, s54                            // 000000006754: D1ED0024 00DB9FD1
	v_perm_b32 v37, v209, v207, s55                            // 00000000675C: D1ED0025 00DF9FD1
	v_perm_b32 v218, v36, v34, s53                             // 000000006764: D1ED00DA 00D64524
	v_perm_b32 v219, v36, v34, s52                             // 00000000676C: D1ED00DB 00D24524
	v_perm_b32 v220, v37, v35, s53                             // 000000006774: D1ED00DC 00D64725
	v_perm_b32 v221, v37, v35, s52                             // 00000000677C: D1ED00DD 00D24725
	v_accvgpr_write_b32 a126, v218                             // 000000006784: D3D9407E 180001DA
	v_accvgpr_write_b32 a130, v219                             // 00000000678C: D3D94082 180001DB
	v_accvgpr_write_b32 a134, v220                             // 000000006794: D3D94086 180001DC
	v_accvgpr_write_b32 a138, v221                             // 00000000679C: D3D9408A 180001DD
	s_waitcnt lgkmcnt(0)                                       // 0000000067A4: BF8CC07F
	s_barrier                                                  // 0000000067A8: BF8A0000
	ds_read_b32 v58, v4 offset:21120                           // 0000000067AC: D86C5280 3A000004
	buffer_load_dword v202, v50, s[20:23], 0 offen             // 0000000067B4: E0501000 8005CA32
	buffer_load_dword v203, v50, s[20:23], 0 offen offset:64   // 0000000067BC: E0501040 8005CB32
	ds_read_b32 v59, v4 offset:21184                           // 0000000067C4: D86C52C0 3B000004
	ds_read_b32 v60, v4 offset:21248                           // 0000000067CC: D86C5300 3C000004
	ds_read_b32 v61, v4 offset:21312                           // 0000000067D4: D86C5340 3D000004
	ds_read_b32 v62, v4 offset:21376                           // 0000000067DC: D86C5380 3E000004
	ds_read_b32 v63, v4 offset:21440                           // 0000000067E4: D86C53C0 3F000004
	ds_read_b32 v64, v4 offset:21504                           // 0000000067EC: D86C5400 40000004
	ds_read_b32 v65, v4 offset:21568                           // 0000000067F4: D86C5440 41000004
	ds_read_b32 v66, v4 offset:21632                           // 0000000067FC: D86C5480 42000004
	buffer_load_dword v204, v51, s[20:23], 0 offen             // 000000006804: E0501000 8005CC33
	buffer_load_dword v205, v51, s[20:23], 0 offen offset:64   // 00000000680C: E0501040 8005CD33
	ds_read_b32 v67, v4 offset:21696                           // 000000006814: D86C54C0 43000004
	ds_read_b32 v68, v4 offset:21760                           // 00000000681C: D86C5500 44000004
	ds_read_b32 v69, v4 offset:21824                           // 000000006824: D86C5540 45000004
	ds_read_b32 v70, v4 offset:21888                           // 00000000682C: D86C5580 46000004
	ds_read_b32 v71, v4 offset:21952                           // 000000006834: D86C55C0 47000004
	ds_read_b32 v72, v4 offset:22016                           // 00000000683C: D86C5600 48000004
	ds_read_b32 v73, v4 offset:22080                           // 000000006844: D86C5640 49000004
	v_perm_b32 v34, v212, v210, s54                            // 00000000684C: D1ED0022 00DBA5D4
	v_perm_b32 v35, v212, v210, s55                            // 000000006854: D1ED0023 00DFA5D4
	v_perm_b32 v36, v216, v214, s54                            // 00000000685C: D1ED0024 00DBADD8
	v_perm_b32 v37, v216, v214, s55                            // 000000006864: D1ED0025 00DFADD8
	v_perm_b32 v218, v36, v34, s53                             // 00000000686C: D1ED00DA 00D64524
	v_perm_b32 v219, v36, v34, s52                             // 000000006874: D1ED00DB 00D24524
	v_perm_b32 v220, v37, v35, s53                             // 00000000687C: D1ED00DC 00D64725
	v_perm_b32 v221, v37, v35, s52                             // 000000006884: D1ED00DD 00D24725
	v_accvgpr_write_b32 a111, v218                             // 00000000688C: D3D9406F 180001DA
	v_accvgpr_write_b32 a115, v219                             // 000000006894: D3D94073 180001DB
	v_accvgpr_write_b32 a119, v220                             // 00000000689C: D3D94077 180001DC
	v_accvgpr_write_b32 a123, v221                             // 0000000068A4: D3D9407B 180001DD
	buffer_load_dword v206, v52, s[20:23], 0 offen             // 0000000068AC: E0501000 8005CE34
	buffer_load_dword v207, v52, s[20:23], 0 offen offset:64   // 0000000068B4: E0501040 8005CF34
	v_perm_b32 v34, v213, v211, s54                            // 0000000068BC: D1ED0022 00DBA7D5
	v_perm_b32 v35, v213, v211, s55                            // 0000000068C4: D1ED0023 00DFA7D5
	v_perm_b32 v36, v217, v215, s54                            // 0000000068CC: D1ED0024 00DBAFD9
	v_perm_b32 v37, v217, v215, s55                            // 0000000068D4: D1ED0025 00DFAFD9
	v_perm_b32 v218, v36, v34, s53                             // 0000000068DC: D1ED00DA 00D64524
	v_perm_b32 v219, v36, v34, s52                             // 0000000068E4: D1ED00DB 00D24524
	v_perm_b32 v220, v37, v35, s53                             // 0000000068EC: D1ED00DC 00D64725
	v_perm_b32 v221, v37, v35, s52                             // 0000000068F4: D1ED00DD 00D24725
	v_accvgpr_write_b32 a127, v218                             // 0000000068FC: D3D9407F 180001DA
	v_accvgpr_write_b32 a131, v219                             // 000000006904: D3D94083 180001DB
	v_accvgpr_write_b32 a135, v220                             // 00000000690C: D3D94087 180001DC
	v_accvgpr_write_b32 a139, v221                             // 000000006914: D3D9408B 180001DD
	s_waitcnt lgkmcnt(0)                                       // 00000000691C: BF8CC07F
	v_max3_f32 v8, v58, v59, v8                                // 000000006920: D1D30008 0422773A
	v_max3_f32 v8, v60, v61, v8                                // 000000006928: D1D30008 04227B3C
	v_max3_f32 v8, v62, v63, v8                                // 000000006930: D1D30008 04227F3E
	v_max3_f32 v8, v64, v65, v8                                // 000000006938: D1D30008 04228340
	v_max3_f32 v8, v66, v67, v8                                // 000000006940: D1D30008 04228742
	v_max3_f32 v8, v68, v69, v8                                // 000000006948: D1D30008 04228B44
	v_max3_f32 v8, v70, v71, v8                                // 000000006950: D1D30008 04228F46
	v_max3_f32 v8, v72, v73, v8                                // 000000006958: D1D30008 04229348
	buffer_load_dword v208, v53, s[20:23], 0 offen             // 000000006960: E0501000 8005D035
	buffer_load_dword v209, v53, s[20:23], 0 offen offset:64   // 000000006968: E0501040 8005D135
	v_cmp_eq_u32_e64 s[34:35], v11, v13                        // 000000006970: D0CA0022 00021B0B
	v_max_f32_e32 v14, v8, v13                                 // 000000006978: 161C1B08
	v_sub_f32_e32 v21, v13, v14                                // 00000000697C: 042A1D0D
	v_cndmask_b32_e64 v21, v21, 0, s[34:35]                    // 000000006980: D1000015 00890115
	v_mov_b32_e32 v13, v14                                     // 000000006988: 7E1A030E
	v_mul_f32_e32 v9, s5, v14                                  // 00000000698C: 0A121C05
	v_mul_f32_e32 v21, s5, v21                                 // 000000006990: 0A2A2A05
	v_exp_f32_e32 v21, v21                                     // 000000006994: 7E2A4115
	buffer_load_dword v210, v54, s[20:23], 0 offen             // 000000006998: E0501000 8005D236
	buffer_load_dword v211, v54, s[20:23], 0 offen offset:64   // 0000000069A0: E0501040 8005D336
	v_fma_f32 v86, v86, s5, -v9                                // 0000000069A8: D1CB0056 84240B56
	v_fma_f32 v87, v87, s5, -v9                                // 0000000069B0: D1CB0057 84240B57
	v_fma_f32 v88, v88, s5, -v9                                // 0000000069B8: D1CB0058 84240B58
	v_fma_f32 v89, v89, s5, -v9                                // 0000000069C0: D1CB0059 84240B59
	v_exp_f32_e32 v86, v86                                     // 0000000069C8: 7EAC4156
	v_exp_f32_e32 v87, v87                                     // 0000000069CC: 7EAE4157
	v_exp_f32_e32 v88, v88                                     // 0000000069D0: 7EB04158
	v_exp_f32_e32 v89, v89                                     // 0000000069D4: 7EB24159
	buffer_load_dword v212, v55, s[20:23], 0 offen             // 0000000069D8: E0501000 8005D437
	buffer_load_dword v213, v55, s[20:23], 0 offen offset:64   // 0000000069E0: E0501040 8005D537
	v_mul_f32_e32 v16, v21, v16                                // 0000000069E8: 0A202115
	v_mov_b32_e32 v17, v86                                     // 0000000069EC: 7E220356
	v_add_f32_e32 v17, v87, v17                                // 0000000069F0: 02222357
	v_add_f32_e32 v17, v88, v17                                // 0000000069F4: 02222358
	v_add_f32_e32 v17, v89, v17                                // 0000000069F8: 02222359
	v_add_f32_e32 v16, v17, v16                                // 0000000069FC: 02202111
	buffer_load_dword v214, v56, s[20:23], 0 offen             // 000000006A00: E0501000 8005D638
	buffer_load_dword v215, v56, s[20:23], 0 offen offset:64   // 000000006A08: E0501040 8005D738
	v_cvt_pk_fp8_f32 v86, v86, v87                             // 000000006A10: D2A20056 0002AF56
	v_cvt_pk_fp8_f32 v86, v88, v89 op_sel:[0,0,1]              // 000000006A18: D2A24056 0002B358
	ds_write_b32 v7, v86                                       // 000000006A20: D81A0000 00005607
	buffer_load_dword v216, v57, s[20:23], 0 offen             // 000000006A28: E0501000 8005D839
	buffer_load_dword v217, v57, s[20:23], 0 offen offset:64   // 000000006A30: E0501040 8005D939
	v_mov_b32_e32 v34, v21                                     // 000000006A38: 7E440315
	v_mov_b32_e32 v35, v21                                     // 000000006A3C: 7E460315
	v_pk_mul_f32 v[122:123], v[34:35], v[122:123]              // 000000006A40: D3B1407A 1802F522
	v_pk_mul_f32 v[124:125], v[34:35], v[124:125]              // 000000006A48: D3B1407C 1802F922
	v_pk_mul_f32 v[126:127], v[34:35], v[126:127]              // 000000006A50: D3B1407E 1802FD22
	v_pk_mul_f32 v[128:129], v[34:35], v[128:129]              // 000000006A58: D3B14080 18030122
	v_pk_mul_f32 v[130:131], v[34:35], v[130:131]              // 000000006A60: D3B14082 18030522
	v_pk_mul_f32 v[132:133], v[34:35], v[132:133]              // 000000006A68: D3B14084 18030922
	v_pk_mul_f32 v[134:135], v[34:35], v[134:135]              // 000000006A70: D3B14086 18030D22
	v_pk_mul_f32 v[136:137], v[34:35], v[136:137]              // 000000006A78: D3B14088 18031122
	v_pk_mul_f32 v[138:139], v[34:35], v[138:139]              // 000000006A80: D3B1408A 18031522
	v_pk_mul_f32 v[140:141], v[34:35], v[140:141]              // 000000006A88: D3B1408C 18031922
	v_pk_mul_f32 v[142:143], v[34:35], v[142:143]              // 000000006A90: D3B1408E 18031D22
	v_pk_mul_f32 v[144:145], v[34:35], v[144:145]              // 000000006A98: D3B14090 18032122
	v_pk_mul_f32 v[146:147], v[34:35], v[146:147]              // 000000006AA0: D3B14092 18032522
	v_pk_mul_f32 v[148:149], v[34:35], v[148:149]              // 000000006AA8: D3B14094 18032922
	v_pk_mul_f32 v[150:151], v[34:35], v[150:151]              // 000000006AB0: D3B14096 18032D22
	v_pk_mul_f32 v[152:153], v[34:35], v[152:153]              // 000000006AB8: D3B14098 18033122
	s_waitcnt lgkmcnt(0)                                       // 000000006AC0: BF8CC07F
	s_barrier                                                  // 000000006AC4: BF8A0000
	ds_read_b64 v[86:87], v6                                   // 000000006AC8: D8EC0000 56000006
	ds_read_b64 v[88:89], v6 offset:32                         // 000000006AD0: D8EC0020 58000006
	v_mul_u32_u24_dpp v42, v26, v10 row_newbcast:0 row_mask:0xf bank_mask:0xf// 000000006AD8: 105414FA FF01501A
	v_mul_u32_u24_dpp v43, v26, v10 row_newbcast:1 row_mask:0xf bank_mask:0xf// 000000006AE0: 105614FA FF01511A
	v_mul_u32_u24_dpp v44, v26, v10 row_newbcast:2 row_mask:0xf bank_mask:0xf// 000000006AE8: 105814FA FF01521A
	v_mul_u32_u24_dpp v45, v26, v10 row_newbcast:3 row_mask:0xf bank_mask:0xf// 000000006AF0: 105A14FA FF01531A
	v_mul_u32_u24_dpp v46, v26, v10 row_newbcast:4 row_mask:0xf bank_mask:0xf// 000000006AF8: 105C14FA FF01541A
	v_mul_u32_u24_dpp v47, v26, v10 row_newbcast:5 row_mask:0xf bank_mask:0xf// 000000006B00: 105E14FA FF01551A
	v_mul_u32_u24_dpp v48, v26, v10 row_newbcast:6 row_mask:0xf bank_mask:0xf// 000000006B08: 106014FA FF01561A
	v_mul_u32_u24_dpp v49, v26, v10 row_newbcast:7 row_mask:0xf bank_mask:0xf// 000000006B10: 106214FA FF01571A
	v_mul_u32_u24_dpp v50, v26, v10 row_newbcast:8 row_mask:0xf bank_mask:0xf// 000000006B18: 106414FA FF01581A
	v_mul_u32_u24_dpp v51, v26, v10 row_newbcast:9 row_mask:0xf bank_mask:0xf// 000000006B20: 106614FA FF01591A
	v_mul_u32_u24_dpp v52, v26, v10 row_newbcast:10 row_mask:0xf bank_mask:0xf// 000000006B28: 106814FA FF015A1A
	v_mul_u32_u24_dpp v53, v26, v10 row_newbcast:11 row_mask:0xf bank_mask:0xf// 000000006B30: 106A14FA FF015B1A
	v_mul_u32_u24_dpp v54, v26, v10 row_newbcast:12 row_mask:0xf bank_mask:0xf// 000000006B38: 106C14FA FF015C1A
	v_mul_u32_u24_dpp v55, v26, v10 row_newbcast:13 row_mask:0xf bank_mask:0xf// 000000006B40: 106E14FA FF015D1A
	v_mul_u32_u24_dpp v56, v26, v10 row_newbcast:14 row_mask:0xf bank_mask:0xf// 000000006B48: 107014FA FF015E1A
	v_mul_u32_u24_dpp v57, v26, v10 row_newbcast:15 row_mask:0xf bank_mask:0xf// 000000006B50: 107214FA FF015F1A
	v_add_u32_dpp v42, v29, v42 row_newbcast:0 row_mask:0xf bank_mask:0xf// 000000006B58: 685454FA FF01501D
	v_add_u32_dpp v43, v29, v43 row_newbcast:1 row_mask:0xf bank_mask:0xf// 000000006B60: 685656FA FF01511D
	v_add_u32_dpp v44, v29, v44 row_newbcast:2 row_mask:0xf bank_mask:0xf// 000000006B68: 685858FA FF01521D
	v_add_u32_dpp v45, v29, v45 row_newbcast:3 row_mask:0xf bank_mask:0xf// 000000006B70: 685A5AFA FF01531D
	v_add_u32_dpp v46, v29, v46 row_newbcast:4 row_mask:0xf bank_mask:0xf// 000000006B78: 685C5CFA FF01541D
	v_add_u32_dpp v47, v29, v47 row_newbcast:5 row_mask:0xf bank_mask:0xf// 000000006B80: 685E5EFA FF01551D
	v_add_u32_dpp v48, v29, v48 row_newbcast:6 row_mask:0xf bank_mask:0xf// 000000006B88: 686060FA FF01561D
	v_add_u32_dpp v49, v29, v49 row_newbcast:7 row_mask:0xf bank_mask:0xf// 000000006B90: 686262FA FF01571D
	v_add_u32_dpp v50, v29, v50 row_newbcast:8 row_mask:0xf bank_mask:0xf// 000000006B98: 686464FA FF01581D
	v_add_u32_dpp v51, v29, v51 row_newbcast:9 row_mask:0xf bank_mask:0xf// 000000006BA0: 686666FA FF01591D
	v_add_u32_dpp v52, v29, v52 row_newbcast:10 row_mask:0xf bank_mask:0xf// 000000006BA8: 686868FA FF015A1D
	v_add_u32_dpp v53, v29, v53 row_newbcast:11 row_mask:0xf bank_mask:0xf// 000000006BB0: 686A6AFA FF015B1D
	v_add_u32_dpp v54, v29, v54 row_newbcast:12 row_mask:0xf bank_mask:0xf// 000000006BB8: 686C6CFA FF015C1D
	v_add_u32_dpp v55, v29, v55 row_newbcast:13 row_mask:0xf bank_mask:0xf// 000000006BC0: 686E6EFA FF015D1D
	v_add_u32_dpp v56, v29, v56 row_newbcast:14 row_mask:0xf bank_mask:0xf// 000000006BC8: 687070FA FF015E1D
	v_add_u32_dpp v57, v29, v57 row_newbcast:15 row_mask:0xf bank_mask:0xf// 000000006BD0: 687272FA FF015F1D
	s_mov_b32 s56, m0                                          // 000000006BD8: BEB8007C
	s_set_gpr_idx_on s51, gpr_idx(SRC0)                        // 000000006BDC: BF110133
	v_add_u32_e32 v38, v42, v3                                 // 000000006BE0: 684C072A
	v_add_u32_e32 v39, v43, v3                                 // 000000006BE4: 684E072B
	v_add_u32_e32 v40, v44, v3                                 // 000000006BE8: 6850072C
	v_add_u32_e32 v41, v45, v3                                 // 000000006BEC: 6852072D
	s_set_gpr_idx_off                                          // 000000006BF0: BF9C0000
	s_mov_b32 m0, s56                                          // 000000006BF4: BEFC0038
	v_add_u32_e32 v42, v42, v2                                 // 000000006BF8: 6854052A
	v_add_u32_e32 v43, v43, v2                                 // 000000006BFC: 6856052B
	v_add_u32_e32 v44, v44, v2                                 // 000000006C00: 6858052C
	v_add_u32_e32 v45, v45, v2                                 // 000000006C04: 685A052D
	v_add_u32_e32 v46, v46, v2                                 // 000000006C08: 685C052E
	v_add_u32_e32 v47, v47, v2                                 // 000000006C0C: 685E052F
	v_add_u32_e32 v48, v48, v2                                 // 000000006C10: 68600530
	v_add_u32_e32 v49, v49, v2                                 // 000000006C14: 68620531
	v_add_u32_e32 v50, v50, v2                                 // 000000006C18: 68640532
	v_add_u32_e32 v51, v51, v2                                 // 000000006C1C: 68660533
	v_add_u32_e32 v52, v52, v2                                 // 000000006C20: 68680534
	v_add_u32_e32 v53, v53, v2                                 // 000000006C24: 686A0535
	v_add_u32_e32 v54, v54, v2                                 // 000000006C28: 686C0536
	v_add_u32_e32 v55, v55, v2                                 // 000000006C2C: 686E0537
	v_add_u32_e32 v56, v56, v2                                 // 000000006C30: 68700538
	v_add_u32_e32 v57, v57, v2                                 // 000000006C34: 68720539
	s_waitcnt lgkmcnt(0)                                       // 000000006C38: BF8CC07F
	s_waitcnt vmcnt(37)                                        // 000000006C3C: BF8C8F75
	v_mfma_f32_16x16x32_fp8_fp8 v[90:93], a[108:109], v[82:83], v[90:93]// 000000006C40: D3F3005A 0D6AA56C
	ds_write_b32 v22, v170                                     // 000000006C48: D81A0000 0000AA16
	ds_write_b32 v22, v171 offset:64                           // 000000006C50: D81A0040 0000AB16
	v_mfma_f32_16x16x32_fp8_fp8 v[90:93], a[110:111], v[84:85], v[90:93]// 000000006C58: D3F3005A 0D6AA96E
	v_mfma_f32_16x16x32_fp8_fp8 v[94:97], a[112:113], v[82:83], v[94:97]// 000000006C60: D3F3005E 0D7AA570
	ds_write_b32 v22, v172 offset:4128                         // 000000006C68: D81A1020 0000AC16
	ds_write_b32 v22, v173 offset:4192                         // 000000006C70: D81A1060 0000AD16
	v_mfma_f32_16x16x32_fp8_fp8 v[94:97], a[114:115], v[84:85], v[94:97]// 000000006C78: D3F3005E 0D7AA972
	v_mfma_f32_16x16x32_fp8_fp8 v[98:101], a[116:117], v[82:83], v[98:101]// 000000006C80: D3F30062 0D8AA574
	ds_write_b32 v22, v174 offset:8256                         // 000000006C88: D81A2040 0000AE16
	ds_write_b32 v22, v175 offset:8320                         // 000000006C90: D81A2080 0000AF16
	v_mfma_f32_16x16x32_fp8_fp8 v[98:101], a[118:119], v[84:85], v[98:101]// 000000006C98: D3F30062 0D8AA976
	v_mfma_f32_16x16x32_fp8_fp8 v[102:105], a[120:121], v[82:83], v[102:105]// 000000006CA0: D3F30066 0D9AA578
	ds_write_b32 v22, v176 offset:12384                        // 000000006CA8: D81A3060 0000B016
	ds_write_b32 v22, v177 offset:12448                        // 000000006CB0: D81A30A0 0000B116
	v_mfma_f32_16x16x32_fp8_fp8 v[102:105], a[122:123], v[84:85], v[102:105]// 000000006CB8: D3F30066 0D9AA97A
	v_mfma_f32_16x16x32_fp8_fp8 v[106:109], a[124:125], v[82:83], v[106:109]// 000000006CC0: D3F3006A 0DAAA57C
	ds_write_b32 v22, v178 offset:512                          // 000000006CC8: D81A0200 0000B216
	ds_write_b32 v22, v179 offset:576                          // 000000006CD0: D81A0240 0000B316
	v_mfma_f32_16x16x32_fp8_fp8 v[106:109], a[126:127], v[84:85], v[106:109]// 000000006CD8: D3F3006A 0DAAA97E
	v_mfma_f32_16x16x32_fp8_fp8 v[110:113], a[128:129], v[82:83], v[110:113]// 000000006CE0: D3F3006E 0DBAA580
	ds_write_b32 v22, v180 offset:4640                         // 000000006CE8: D81A1220 0000B416
	ds_write_b32 v22, v181 offset:4704                         // 000000006CF0: D81A1260 0000B516
	v_mfma_f32_16x16x32_fp8_fp8 v[110:113], a[130:131], v[84:85], v[110:113]// 000000006CF8: D3F3006E 0DBAA982
	v_mfma_f32_16x16x32_fp8_fp8 v[114:117], a[132:133], v[82:83], v[114:117]// 000000006D00: D3F30072 0DCAA584
	ds_write_b32 v22, v182 offset:8768                         // 000000006D08: D81A2240 0000B616
	ds_write_b32 v22, v183 offset:8832                         // 000000006D10: D81A2280 0000B716
	v_mfma_f32_16x16x32_fp8_fp8 v[114:117], a[134:135], v[84:85], v[114:117]// 000000006D18: D3F30072 0DCAA986
	v_mfma_f32_16x16x32_fp8_fp8 v[118:121], a[136:137], v[82:83], v[118:121]// 000000006D20: D3F30076 0DDAA588
	ds_write_b32 v22, v184 offset:12896                        // 000000006D28: D81A3260 0000B816
	ds_write_b32 v22, v185 offset:12960                        // 000000006D30: D81A32A0 0000B916
	v_mfma_f32_16x16x32_fp8_fp8 v[118:121], a[138:139], v[84:85], v[118:121]// 000000006D38: D3F30076 0DDAA98A
	ds_read_b64 a[104:105], v25 offset:16512                   // 000000006D40: DAEC4080 68000019
	ds_read_b64 a[106:107], v25 offset:16520                   // 000000006D48: DAEC4088 6A000019
	v_mfma_f32_16x16x32_fp8_fp8 v[122:125], a[108:109], v[86:87], v[122:125]// 000000006D50: D3F3007A 0DEAAD6C
	v_mfma_f32_16x16x32_fp8_fp8 v[122:125], a[110:111], v[88:89], v[122:125]// 000000006D58: D3F3007A 0DEAB16E
	s_waitcnt lgkmcnt(4)                                       // 000000006D60: BF8CC47F
	s_barrier                                                  // 000000006D64: BF8A0000
	v_mfma_f32_16x16x32_fp8_fp8 v[126:129], a[112:113], v[86:87], v[126:129]// 000000006D68: D3F3007E 0DFAAD70
	ds_read_b128 a[72:75], v24                                 // 000000006D70: DBFE0000 48000018
	v_mfma_f32_16x16x32_fp8_fp8 v[126:129], a[114:115], v[88:89], v[126:129]// 000000006D78: D3F3007E 0DFAB172
	ds_read_b128 a[76:79], v24 offset:64                       // 000000006D80: DBFE0040 4C000018
	v_mfma_f32_16x16x32_fp8_fp8 v[130:133], a[116:117], v[86:87], v[130:133]// 000000006D88: D3F30082 0E0AAD74
	ds_read_b128 a[80:83], v24 offset:128                      // 000000006D90: DBFE0080 50000018
	v_mfma_f32_16x16x32_fp8_fp8 v[130:133], a[118:119], v[88:89], v[130:133]// 000000006D98: D3F30082 0E0AB176
	ds_read_b128 a[84:87], v24 offset:192                      // 000000006DA0: DBFE00C0 54000018
	v_mfma_f32_16x16x32_fp8_fp8 v[134:137], a[120:121], v[86:87], v[134:137]// 000000006DA8: D3F30086 0E1AAD78
	ds_read_b128 a[88:91], v24 offset:256                      // 000000006DB0: DBFE0100 58000018
	v_mfma_f32_16x16x32_fp8_fp8 v[134:137], a[122:123], v[88:89], v[134:137]// 000000006DB8: D3F30086 0E1AB17A
	ds_read_b128 a[92:95], v24 offset:320                      // 000000006DC0: DBFE0140 5C000018
	v_mfma_f32_16x16x32_fp8_fp8 v[138:141], a[124:125], v[86:87], v[138:141]// 000000006DC8: D3F3008A 0E2AAD7C
	ds_read_b128 a[96:99], v24 offset:384                      // 000000006DD0: DBFE0180 60000018
	v_mfma_f32_16x16x32_fp8_fp8 v[138:141], a[126:127], v[88:89], v[138:141]// 000000006DD8: D3F3008A 0E2AB17E
	ds_read_b128 a[100:103], v24 offset:448                    // 000000006DE0: DBFE01C0 64000018
	v_mfma_f32_16x16x32_fp8_fp8 v[142:145], a[128:129], v[86:87], v[142:145]// 000000006DE8: D3F3008E 0E3AAD80
	v_mfma_f32_16x16x32_fp8_fp8 v[142:145], a[130:131], v[88:89], v[142:145]// 000000006DF0: D3F3008E 0E3AB182
	v_mfma_f32_16x16x32_fp8_fp8 v[146:149], a[132:133], v[86:87], v[146:149]// 000000006DF8: D3F30092 0E4AAD84
	v_mfma_f32_16x16x32_fp8_fp8 v[146:149], a[134:135], v[88:89], v[146:149]// 000000006E00: D3F30092 0E4AB186
	v_mfma_f32_16x16x32_fp8_fp8 v[150:153], a[136:137], v[86:87], v[150:153]// 000000006E08: D3F30096 0E5AAD88
	v_mfma_f32_16x16x32_fp8_fp8 v[150:153], a[138:139], v[88:89], v[150:153]// 000000006E10: D3F30096 0E5AB18A
	s_addk_i32 s70, 0x1                                        // 000000006E18: B7460001
	s_cmp_lt_i32 s70, s71                                      // 000000006E1C: BF044746
	s_cbranch_scc0 label_0B7A                                  // 000000006E20: BF84F8B1
	s_branch label_0B7D                                        // 000000006E24: BF82F8B3

0000000000006e28 <label_12CA>:
	s_cmp_eq_i32 s48, 0                                        // 000000006E28: BF008030
	s_cbranch_scc1 label_1992                                  // 000000006E2C: BF850683

0000000000006e30 <label_12CC>:
	s_and_b32 s56, s71, 1                                      // 000000006E30: 86388147
	s_cmp_eq_i32 s56, 1                                        // 000000006E34: BF008138
	s_cbranch_scc1 label_160F                                  // 000000006E38: BF850340
	s_waitcnt vmcnt(0) expcnt(0) lgkmcnt(0)                    // 000000006E3C: BF8C0000
	s_barrier                                                  // 000000006E40: BF8A0000
	v_mfma_f32_16x16x32_fp8_fp8 v[82:85], a[72:73], a[0:1], 0  // 000000006E44: D3F30052 1A020148
	v_mfma_f32_16x16x32_fp8_fp8 v[82:85], a[74:75], a[2:3], v[82:85]// 000000006E4C: D3F30052 1D4A054A
	v_mfma_f32_16x16x32_fp8_fp8 v[82:85], a[76:77], a[4:5], v[82:85]// 000000006E54: D3F30052 1D4A094C
	v_mfma_f32_16x16x32_fp8_fp8 v[82:85], a[78:79], a[6:7], v[82:85]// 000000006E5C: D3F30052 1D4A0D4E
	v_mfma_f32_16x16x32_fp8_fp8 v[82:85], a[80:81], a[8:9], v[82:85]// 000000006E64: D3F30052 1D4A1150
	v_mfma_f32_16x16x32_fp8_fp8 v[82:85], a[82:83], a[10:11], v[82:85]// 000000006E6C: D3F30052 1D4A1552
	v_mfma_f32_16x16x32_fp8_fp8 v[82:85], a[84:85], a[12:13], v[82:85]// 000000006E74: D3F30052 1D4A1954
	v_mfma_f32_16x16x32_fp8_fp8 v[82:85], a[86:87], a[14:15], v[82:85]// 000000006E7C: D3F30052 1D4A1D56
	v_mfma_f32_16x16x32_fp8_fp8 v[82:85], a[88:89], a[16:17], v[82:85]// 000000006E84: D3F30052 1D4A2158
	v_mfma_f32_16x16x32_fp8_fp8 v[82:85], a[90:91], a[18:19], v[82:85]// 000000006E8C: D3F30052 1D4A255A
	v_mfma_f32_16x16x32_fp8_fp8 v[82:85], a[92:93], a[20:21], v[82:85]// 000000006E94: D3F30052 1D4A295C
	v_mfma_f32_16x16x32_fp8_fp8 v[82:85], a[94:95], a[22:23], v[82:85]// 000000006E9C: D3F30052 1D4A2D5E
	v_mfma_f32_16x16x32_fp8_fp8 v[82:85], a[96:97], a[24:25], v[82:85]// 000000006EA4: D3F30052 1D4A3160
	v_mfma_f32_16x16x32_fp8_fp8 v[82:85], a[98:99], a[26:27], v[82:85]// 000000006EAC: D3F30052 1D4A3562
	v_mfma_f32_16x16x32_fp8_fp8 v[82:85], a[100:101], a[28:29], v[82:85]// 000000006EB4: D3F30052 1D4A3964
	v_mfma_f32_16x16x32_fp8_fp8 v[82:85], a[102:103], a[30:31], v[82:85]// 000000006EBC: D3F30052 1D4A3D66
	v_mfma_f32_16x16x32_fp8_fp8 v[82:85], a[104:105], a[32:33], v[82:85]// 000000006EC4: D3F30052 1D4A4168
	v_mfma_f32_16x16x32_fp8_fp8 v[82:85], a[106:107], a[34:35], v[82:85]// 000000006ECC: D3F30052 1D4A456A
	v_mfma_f32_16x16x32_fp8_fp8 v[86:89], a[72:73], a[36:37], 0// 000000006ED4: D3F30056 1A024948
	v_mfma_f32_16x16x32_fp8_fp8 v[86:89], a[74:75], a[38:39], v[86:89]// 000000006EDC: D3F30056 1D5A4D4A
	v_mfma_f32_16x16x32_fp8_fp8 v[86:89], a[76:77], a[40:41], v[86:89]// 000000006EE4: D3F30056 1D5A514C
	v_mfma_f32_16x16x32_fp8_fp8 v[86:89], a[78:79], a[42:43], v[86:89]// 000000006EEC: D3F30056 1D5A554E
	v_mfma_f32_16x16x32_fp8_fp8 v[86:89], a[80:81], a[44:45], v[86:89]// 000000006EF4: D3F30056 1D5A5950
	v_mfma_f32_16x16x32_fp8_fp8 v[86:89], a[82:83], a[46:47], v[86:89]// 000000006EFC: D3F30056 1D5A5D52
	v_mfma_f32_16x16x32_fp8_fp8 v[86:89], a[84:85], a[48:49], v[86:89]// 000000006F04: D3F30056 1D5A6154
	v_mfma_f32_16x16x32_fp8_fp8 v[86:89], a[86:87], a[50:51], v[86:89]// 000000006F0C: D3F30056 1D5A6556
	v_mfma_f32_16x16x32_fp8_fp8 v[86:89], a[88:89], a[52:53], v[86:89]// 000000006F14: D3F30056 1D5A6958
	v_mfma_f32_16x16x32_fp8_fp8 v[86:89], a[90:91], a[54:55], v[86:89]// 000000006F1C: D3F30056 1D5A6D5A
	v_mfma_f32_16x16x32_fp8_fp8 v[86:89], a[92:93], a[56:57], v[86:89]// 000000006F24: D3F30056 1D5A715C
	v_mfma_f32_16x16x32_fp8_fp8 v[86:89], a[94:95], a[58:59], v[86:89]// 000000006F2C: D3F30056 1D5A755E
	v_mfma_f32_16x16x32_fp8_fp8 v[86:89], a[96:97], a[60:61], v[86:89]// 000000006F34: D3F30056 1D5A7960
	v_mfma_f32_16x16x32_fp8_fp8 v[86:89], a[98:99], a[62:63], v[86:89]// 000000006F3C: D3F30056 1D5A7D62
	v_mfma_f32_16x16x32_fp8_fp8 v[86:89], a[100:101], a[64:65], v[86:89]// 000000006F44: D3F30056 1D5A8164
	v_mfma_f32_16x16x32_fp8_fp8 v[86:89], a[102:103], a[66:67], v[86:89]// 000000006F4C: D3F30056 1D5A8566
	v_mfma_f32_16x16x32_fp8_fp8 v[86:89], a[104:105], a[68:69], v[86:89]// 000000006F54: D3F30056 1D5A8968
	v_mfma_f32_16x16x32_fp8_fp8 v[86:89], a[106:107], a[70:71], v[86:89]// 000000006F5C: D3F30056 1D5A8D6A
	s_nop 8                                                    // 000000006F64: BF800008
	s_cmp_le_i32 s83, s82                                      // 000000006F68: BF055253
	s_cbranch_scc1 label_133F                                  // 000000006F6C: BF850023
	s_add_u32 s57, s82, 0                                      // 000000006F70: 80398052
	v_mov_b32_e32 v38, s57                                     // 000000006F74: 7E4C0239
	s_sub_u32 s56, s83, 63                                     // 000000006F78: 80B8BF53
	s_mul_i32 s57, s7, 16                                      // 000000006F7C: 92399007
	v_lshrrev_b32_e32 v47, 4, v0                               // 000000006F80: 205E0084
	v_mul_i32_i24_e32 v47, 4, v47                              // 000000006F84: 0C5E5E84
	v_add_u32_e32 v47, s56, v47                                // 000000006F88: 685E5E38
	v_add_u32_e32 v47, s57, v47                                // 000000006F8C: 685E5E39
	v_add_u32_e32 v48, 1, v47                                  // 000000006F90: 68605E81
	v_add_u32_e32 v49, 2, v47                                  // 000000006F94: 68625E82
	v_add_u32_e32 v50, 3, v47                                  // 000000006F98: 68645E83
	v_cmp_le_u32_e64 s[34:35], v47, v38                        // 000000006F9C: D0CB0022 00024D2F
	v_add_u32_e32 v47, 64, v47                                 // 000000006FA4: 685E5EC0
	s_nop 0                                                    // 000000006FA8: BF800000
	v_cndmask_b32_e64 v82, v11, v82, s[34:35]                  // 000000006FAC: D1000052 008AA50B
	v_cmp_le_u32_e64 s[34:35], v48, v38                        // 000000006FB4: D0CB0022 00024D30
	v_add_u32_e32 v48, 64, v48                                 // 000000006FBC: 686060C0
	s_nop 0                                                    // 000000006FC0: BF800000
	v_cndmask_b32_e64 v83, v11, v83, s[34:35]                  // 000000006FC4: D1000053 008AA70B
	v_cmp_le_u32_e64 s[34:35], v49, v38                        // 000000006FCC: D0CB0022 00024D31
	v_add_u32_e32 v49, 64, v49                                 // 000000006FD4: 686262C0
	s_nop 0                                                    // 000000006FD8: BF800000
	v_cndmask_b32_e64 v84, v11, v84, s[34:35]                  // 000000006FDC: D1000054 008AA90B
	v_cmp_le_u32_e64 s[34:35], v50, v38                        // 000000006FE4: D0CB0022 00024D32
	v_add_u32_e32 v50, 64, v50                                 // 000000006FEC: 686464C0
	s_nop 0                                                    // 000000006FF0: BF800000
	v_cndmask_b32_e64 v85, v11, v85, s[34:35]                  // 000000006FF4: D1000055 008AAB0B

0000000000006ffc <label_133F>:
	v_mov_b32_e32 v8, v82                                      // 000000006FFC: 7E100352
	v_max3_f32 v8, v82, v83, v8                                // 000000007000: D1D30008 0422A752
	v_max3_f32 v8, v84, v85, v8                                // 000000007008: D1D30008 0422AB54
	ds_write_b32 v5, v8 offset:21120                           // 000000007010: D81A5280 00000805
	v_perm_b32 v34, v156, v154, s54                            // 000000007018: D1ED0022 00DB359C
	v_perm_b32 v35, v156, v154, s55                            // 000000007020: D1ED0023 00DF359C
	v_perm_b32 v36, v160, v158, s54                            // 000000007028: D1ED0024 00DB3DA0
	v_perm_b32 v37, v160, v158, s55                            // 000000007030: D1ED0025 00DF3DA0
	v_perm_b32 v218, v36, v34, s53                             // 000000007038: D1ED00DA 00D64524
	v_perm_b32 v219, v36, v34, s52                             // 000000007040: D1ED00DB 00D24524
	v_perm_b32 v220, v37, v35, s53                             // 000000007048: D1ED00DC 00D64725
	v_perm_b32 v221, v37, v35, s52                             // 000000007050: D1ED00DD 00D24725
	v_accvgpr_write_b32 a108, v218                             // 000000007058: D3D9406C 180001DA
	v_accvgpr_write_b32 a112, v219                             // 000000007060: D3D94070 180001DB
	v_accvgpr_write_b32 a116, v220                             // 000000007068: D3D94074 180001DC
	v_accvgpr_write_b32 a120, v221                             // 000000007070: D3D94078 180001DD
	v_perm_b32 v34, v157, v155, s54                            // 000000007078: D1ED0022 00DB379D
	v_perm_b32 v35, v157, v155, s55                            // 000000007080: D1ED0023 00DF379D
	v_perm_b32 v36, v161, v159, s54                            // 000000007088: D1ED0024 00DB3FA1
	v_perm_b32 v37, v161, v159, s55                            // 000000007090: D1ED0025 00DF3FA1
	v_perm_b32 v218, v36, v34, s53                             // 000000007098: D1ED00DA 00D64524
	v_perm_b32 v219, v36, v34, s52                             // 0000000070A0: D1ED00DB 00D24524
	v_perm_b32 v220, v37, v35, s53                             // 0000000070A8: D1ED00DC 00D64725
	v_perm_b32 v221, v37, v35, s52                             // 0000000070B0: D1ED00DD 00D24725
	v_accvgpr_write_b32 a124, v218                             // 0000000070B8: D3D9407C 180001DA
	v_accvgpr_write_b32 a128, v219                             // 0000000070C0: D3D94080 180001DB
	v_accvgpr_write_b32 a132, v220                             // 0000000070C8: D3D94084 180001DC
	v_accvgpr_write_b32 a136, v221                             // 0000000070D0: D3D94088 180001DD
	s_waitcnt lgkmcnt(0)                                       // 0000000070D8: BF8CC07F
	s_barrier                                                  // 0000000070DC: BF8A0000
	v_perm_b32 v34, v164, v162, s54                            // 0000000070E0: D1ED0022 00DB45A4
	v_perm_b32 v35, v164, v162, s55                            // 0000000070E8: D1ED0023 00DF45A4
	v_perm_b32 v36, v168, v166, s54                            // 0000000070F0: D1ED0024 00DB4DA8
	v_perm_b32 v37, v168, v166, s55                            // 0000000070F8: D1ED0025 00DF4DA8
	v_perm_b32 v218, v36, v34, s53                             // 000000007100: D1ED00DA 00D64524
	v_perm_b32 v219, v36, v34, s52                             // 000000007108: D1ED00DB 00D24524
	v_perm_b32 v220, v37, v35, s53                             // 000000007110: D1ED00DC 00D64725
	v_perm_b32 v221, v37, v35, s52                             // 000000007118: D1ED00DD 00D24725
	v_accvgpr_write_b32 a109, v218                             // 000000007120: D3D9406D 180001DA
	v_accvgpr_write_b32 a113, v219                             // 000000007128: D3D94071 180001DB
	v_accvgpr_write_b32 a117, v220                             // 000000007130: D3D94075 180001DC
	v_accvgpr_write_b32 a121, v221                             // 000000007138: D3D94079 180001DD
	ds_read_b32 v58, v4 offset:21120                           // 000000007140: D86C5280 3A000004
	ds_read_b32 v59, v4 offset:21184                           // 000000007148: D86C52C0 3B000004
	ds_read_b32 v60, v4 offset:21248                           // 000000007150: D86C5300 3C000004
	ds_read_b32 v61, v4 offset:21312                           // 000000007158: D86C5340 3D000004
	ds_read_b32 v62, v4 offset:21376                           // 000000007160: D86C5380 3E000004
	ds_read_b32 v63, v4 offset:21440                           // 000000007168: D86C53C0 3F000004
	ds_read_b32 v64, v4 offset:21504                           // 000000007170: D86C5400 40000004
	ds_read_b32 v65, v4 offset:21568                           // 000000007178: D86C5440 41000004
	ds_read_b32 v66, v4 offset:21632                           // 000000007180: D86C5480 42000004
	ds_read_b32 v67, v4 offset:21696                           // 000000007188: D86C54C0 43000004
	ds_read_b32 v68, v4 offset:21760                           // 000000007190: D86C5500 44000004
	ds_read_b32 v69, v4 offset:21824                           // 000000007198: D86C5540 45000004
	ds_read_b32 v70, v4 offset:21888                           // 0000000071A0: D86C5580 46000004
	ds_read_b32 v71, v4 offset:21952                           // 0000000071A8: D86C55C0 47000004
	ds_read_b32 v72, v4 offset:22016                           // 0000000071B0: D86C5600 48000004
	ds_read_b32 v73, v4 offset:22080                           // 0000000071B8: D86C5640 49000004
	v_perm_b32 v34, v165, v163, s54                            // 0000000071C0: D1ED0022 00DB47A5
	v_perm_b32 v35, v165, v163, s55                            // 0000000071C8: D1ED0023 00DF47A5
	v_perm_b32 v36, v169, v167, s54                            // 0000000071D0: D1ED0024 00DB4FA9
	v_perm_b32 v37, v169, v167, s55                            // 0000000071D8: D1ED0025 00DF4FA9
	v_perm_b32 v218, v36, v34, s53                             // 0000000071E0: D1ED00DA 00D64524
	v_perm_b32 v219, v36, v34, s52                             // 0000000071E8: D1ED00DB 00D24524
	v_perm_b32 v220, v37, v35, s53                             // 0000000071F0: D1ED00DC 00D64725
	v_perm_b32 v221, v37, v35, s52                             // 0000000071F8: D1ED00DD 00D24725
	v_accvgpr_write_b32 a125, v218                             // 000000007200: D3D9407D 180001DA
	v_accvgpr_write_b32 a129, v219                             // 000000007208: D3D94081 180001DB
	v_accvgpr_write_b32 a133, v220                             // 000000007210: D3D94085 180001DC
	v_accvgpr_write_b32 a137, v221                             // 000000007218: D3D94089 180001DD
	s_waitcnt lgkmcnt(0)                                       // 000000007220: BF8CC07F
	v_max3_f32 v8, v58, v59, v8                                // 000000007224: D1D30008 0422773A
	v_max3_f32 v8, v60, v61, v8                                // 00000000722C: D1D30008 04227B3C
	v_max3_f32 v8, v62, v63, v8                                // 000000007234: D1D30008 04227F3E
	v_max3_f32 v8, v64, v65, v8                                // 00000000723C: D1D30008 04228340
	v_max3_f32 v8, v66, v67, v8                                // 000000007244: D1D30008 04228742
	v_max3_f32 v8, v68, v69, v8                                // 00000000724C: D1D30008 04228B44
	v_max3_f32 v8, v70, v71, v8                                // 000000007254: D1D30008 04228F46
	v_max3_f32 v8, v72, v73, v8                                // 00000000725C: D1D30008 04229348
	v_cmp_eq_u32_e64 s[34:35], v11, v12                        // 000000007264: D0CA0022 0002190B
	v_max_f32_e32 v14, v8, v12                                 // 00000000726C: 161C1908
	v_sub_f32_e32 v20, v12, v14                                // 000000007270: 04281D0C
	v_cndmask_b32_e64 v20, v20, 0, s[34:35]                    // 000000007274: D1000014 00890114
	v_mov_b32_e32 v12, v14                                     // 00000000727C: 7E18030E
	v_mul_f32_e32 v9, s5, v14                                  // 000000007280: 0A121C05
	v_mul_f32_e32 v20, s5, v20                                 // 000000007284: 0A282805
	v_exp_f32_e32 v20, v20                                     // 000000007288: 7E284114
	s_and_b32 s56, s48, 0xff                                   // 00000000728C: 8638FF30 000000FF
	v_mov_b32_e32 v46, s56                                     // 000000007294: 7E5C0238
	v_lshrrev_b32_e32 v47, 4, v0                               // 000000007298: 205E0084
	v_mul_i32_i24_e32 v47, 4, v47                              // 00000000729C: 0C5E5E84
	s_mul_i32 s56, s7, 16                                      // 0000000072A0: 92389007
	v_add_u32_e32 v47, s56, v47                                // 0000000072A4: 685E5E38
	v_add_u32_e32 v48, 1, v47                                  // 0000000072A8: 68605E81
	v_add_u32_e32 v49, 2, v47                                  // 0000000072AC: 68625E82
	v_add_u32_e32 v50, 3, v47                                  // 0000000072B0: 68645E83
	v_cmp_lt_u32_e64 s[34:35], v47, v46                        // 0000000072B4: D0C90022 00025D2F
	v_add_u32_e32 v47, 64, v47                                 // 0000000072BC: 685E5EC0
	s_nop 0                                                    // 0000000072C0: BF800000
	v_cndmask_b32_e64 v82, v11, v82, s[34:35]                  // 0000000072C4: D1000052 008AA50B
	v_cmp_lt_u32_e64 s[34:35], v48, v46                        // 0000000072CC: D0C90022 00025D30
	v_add_u32_e32 v48, 64, v48                                 // 0000000072D4: 686060C0
	s_nop 0                                                    // 0000000072D8: BF800000
	v_cndmask_b32_e64 v83, v11, v83, s[34:35]                  // 0000000072DC: D1000053 008AA70B
	v_cmp_lt_u32_e64 s[34:35], v49, v46                        // 0000000072E4: D0C90022 00025D31
	v_add_u32_e32 v49, 64, v49                                 // 0000000072EC: 686262C0
	s_nop 0                                                    // 0000000072F0: BF800000
	v_cndmask_b32_e64 v84, v11, v84, s[34:35]                  // 0000000072F4: D1000054 008AA90B
	v_cmp_lt_u32_e64 s[34:35], v50, v46                        // 0000000072FC: D0C90022 00025D32
	v_add_u32_e32 v50, 64, v50                                 // 000000007304: 686464C0
	s_nop 0                                                    // 000000007308: BF800000
	v_cndmask_b32_e64 v85, v11, v85, s[34:35]                  // 00000000730C: D1000055 008AAB0B
	v_fma_f32 v82, v82, s5, -v9                                // 000000007314: D1CB0052 84240B52
	v_fma_f32 v83, v83, s5, -v9                                // 00000000731C: D1CB0053 84240B53
	v_fma_f32 v84, v84, s5, -v9                                // 000000007324: D1CB0054 84240B54
	v_fma_f32 v85, v85, s5, -v9                                // 00000000732C: D1CB0055 84240B55
	v_exp_f32_e32 v82, v82                                     // 000000007334: 7EA44152
	v_exp_f32_e32 v83, v83                                     // 000000007338: 7EA64153
	v_exp_f32_e32 v84, v84                                     // 00000000733C: 7EA84154
	v_exp_f32_e32 v85, v85                                     // 000000007340: 7EAA4155
	v_mul_f32_e32 v15, v20, v15                                // 000000007344: 0A1E1F14
	v_mov_b32_e32 v17, v82                                     // 000000007348: 7E220352
	v_add_f32_e32 v17, v83, v17                                // 00000000734C: 02222353
	v_add_f32_e32 v17, v84, v17                                // 000000007350: 02222354
	v_add_f32_e32 v17, v85, v17                                // 000000007354: 02222355
	v_add_f32_e32 v15, v17, v15                                // 000000007358: 021E1F11
	v_cvt_pk_fp8_f32 v82, v82, v83                             // 00000000735C: D2A20052 0002A752
	v_cvt_pk_fp8_f32 v82, v84, v85 op_sel:[0,0,1]              // 000000007364: D2A24052 0002AB54
	ds_write_b32 v7, v82                                       // 00000000736C: D81A0000 00005207
	s_waitcnt lgkmcnt(0)                                       // 000000007374: BF8CC07F
	s_barrier                                                  // 000000007378: BF8A0000
	ds_read_b64 v[82:83], v6                                   // 00000000737C: D8EC0000 52000006
	ds_read_b64 v[84:85], v6 offset:32                         // 000000007384: D8EC0020 54000006
	v_mov_b32_e32 v34, v20                                     // 00000000738C: 7E440314
	v_mov_b32_e32 v35, v20                                     // 000000007390: 7E460314
	v_pk_mul_f32 v[90:91], v[34:35], v[90:91]                  // 000000007394: D3B1405A 1802B522
	v_pk_mul_f32 v[92:93], v[34:35], v[92:93]                  // 00000000739C: D3B1405C 1802B922
	v_pk_mul_f32 v[94:95], v[34:35], v[94:95]                  // 0000000073A4: D3B1405E 1802BD22
	v_pk_mul_f32 v[96:97], v[34:35], v[96:97]                  // 0000000073AC: D3B14060 1802C122
	v_pk_mul_f32 v[98:99], v[34:35], v[98:99]                  // 0000000073B4: D3B14062 1802C522
	v_pk_mul_f32 v[100:101], v[34:35], v[100:101]              // 0000000073BC: D3B14064 1802C922
	v_pk_mul_f32 v[102:103], v[34:35], v[102:103]              // 0000000073C4: D3B14066 1802CD22
	v_pk_mul_f32 v[104:105], v[34:35], v[104:105]              // 0000000073CC: D3B14068 1802D122
	v_pk_mul_f32 v[106:107], v[34:35], v[106:107]              // 0000000073D4: D3B1406A 1802D522
	v_pk_mul_f32 v[108:109], v[34:35], v[108:109]              // 0000000073DC: D3B1406C 1802D922
	v_pk_mul_f32 v[110:111], v[34:35], v[110:111]              // 0000000073E4: D3B1406E 1802DD22
	v_pk_mul_f32 v[112:113], v[34:35], v[112:113]              // 0000000073EC: D3B14070 1802E122
	v_pk_mul_f32 v[114:115], v[34:35], v[114:115]              // 0000000073F4: D3B14072 1802E522
	v_pk_mul_f32 v[116:117], v[34:35], v[116:117]              // 0000000073FC: D3B14074 1802E922
	v_pk_mul_f32 v[118:119], v[34:35], v[118:119]              // 000000007404: D3B14076 1802ED22
	v_pk_mul_f32 v[120:121], v[34:35], v[120:121]              // 00000000740C: D3B14078 1802F122
	s_waitcnt lgkmcnt(0)                                       // 000000007414: BF8CC07F
	s_cmp_le_i32 s83, s82                                      // 000000007418: BF055253
	s_cbranch_scc1 label_146B                                  // 00000000741C: BF850023
	s_add_u32 s57, s82, 1                                      // 000000007420: 80398152
	v_mov_b32_e32 v38, s57                                     // 000000007424: 7E4C0239
	s_sub_u32 s56, s83, 63                                     // 000000007428: 80B8BF53
	s_mul_i32 s57, s7, 16                                      // 00000000742C: 92399007
	v_lshrrev_b32_e32 v47, 4, v0                               // 000000007430: 205E0084
	v_mul_i32_i24_e32 v47, 4, v47                              // 000000007434: 0C5E5E84
	v_add_u32_e32 v47, s56, v47                                // 000000007438: 685E5E38
	v_add_u32_e32 v47, s57, v47                                // 00000000743C: 685E5E39
	v_add_u32_e32 v48, 1, v47                                  // 000000007440: 68605E81
	v_add_u32_e32 v49, 2, v47                                  // 000000007444: 68625E82
	v_add_u32_e32 v50, 3, v47                                  // 000000007448: 68645E83
	v_cmp_le_u32_e64 s[34:35], v47, v38                        // 00000000744C: D0CB0022 00024D2F
	v_add_u32_e32 v47, 64, v47                                 // 000000007454: 685E5EC0
	s_nop 0                                                    // 000000007458: BF800000
	v_cndmask_b32_e64 v86, v11, v86, s[34:35]                  // 00000000745C: D1000056 008AAD0B
	v_cmp_le_u32_e64 s[34:35], v48, v38                        // 000000007464: D0CB0022 00024D30
	v_add_u32_e32 v48, 64, v48                                 // 00000000746C: 686060C0
	s_nop 0                                                    // 000000007470: BF800000
	v_cndmask_b32_e64 v87, v11, v87, s[34:35]                  // 000000007474: D1000057 008AAF0B
	v_cmp_le_u32_e64 s[34:35], v49, v38                        // 00000000747C: D0CB0022 00024D31
	v_add_u32_e32 v49, 64, v49                                 // 000000007484: 686262C0
	s_nop 0                                                    // 000000007488: BF800000
	v_cndmask_b32_e64 v88, v11, v88, s[34:35]                  // 00000000748C: D1000058 008AB10B
	v_cmp_le_u32_e64 s[34:35], v50, v38                        // 000000007494: D0CB0022 00024D32
	v_add_u32_e32 v50, 64, v50                                 // 00000000749C: 686464C0
	s_nop 0                                                    // 0000000074A0: BF800000
	v_cndmask_b32_e64 v89, v11, v89, s[34:35]                  // 0000000074A4: D1000059 008AB30B

00000000000074ac <label_146B>:
	s_add_u32 s83, s84, s83                                    // 0000000074AC: 80535354
	v_mov_b32_e32 v8, v86                                      // 0000000074B0: 7E100356
	v_max3_f32 v8, v86, v87, v8                                // 0000000074B4: D1D30008 0422AF56
	v_max3_f32 v8, v88, v89, v8                                // 0000000074BC: D1D30008 0422B358
	ds_write_b32 v5, v8 offset:21120                           // 0000000074C4: D81A5280 00000805
	v_perm_b32 v34, v172, v170, s54                            // 0000000074CC: D1ED0022 00DB55AC
	v_perm_b32 v35, v172, v170, s55                            // 0000000074D4: D1ED0023 00DF55AC
	v_perm_b32 v36, v176, v174, s54                            // 0000000074DC: D1ED0024 00DB5DB0
	v_perm_b32 v37, v176, v174, s55                            // 0000000074E4: D1ED0025 00DF5DB0
	v_perm_b32 v218, v36, v34, s53                             // 0000000074EC: D1ED00DA 00D64524
	v_perm_b32 v219, v36, v34, s52                             // 0000000074F4: D1ED00DB 00D24524
	v_perm_b32 v220, v37, v35, s53                             // 0000000074FC: D1ED00DC 00D64725
	v_perm_b32 v221, v37, v35, s52                             // 000000007504: D1ED00DD 00D24725
	v_accvgpr_write_b32 a110, v218                             // 00000000750C: D3D9406E 180001DA
	v_accvgpr_write_b32 a114, v219                             // 000000007514: D3D94072 180001DB
	v_accvgpr_write_b32 a118, v220                             // 00000000751C: D3D94076 180001DC
	v_accvgpr_write_b32 a122, v221                             // 000000007524: D3D9407A 180001DD
	v_perm_b32 v34, v173, v171, s54                            // 00000000752C: D1ED0022 00DB57AD
	v_perm_b32 v35, v173, v171, s55                            // 000000007534: D1ED0023 00DF57AD
	v_perm_b32 v36, v177, v175, s54                            // 00000000753C: D1ED0024 00DB5FB1
	v_perm_b32 v37, v177, v175, s55                            // 000000007544: D1ED0025 00DF5FB1
	v_perm_b32 v218, v36, v34, s53                             // 00000000754C: D1ED00DA 00D64524
	v_perm_b32 v219, v36, v34, s52                             // 000000007554: D1ED00DB 00D24524
	v_perm_b32 v220, v37, v35, s53                             // 00000000755C: D1ED00DC 00D64725
	v_perm_b32 v221, v37, v35, s52                             // 000000007564: D1ED00DD 00D24725
	v_accvgpr_write_b32 a126, v218                             // 00000000756C: D3D9407E 180001DA
	v_accvgpr_write_b32 a130, v219                             // 000000007574: D3D94082 180001DB
	v_accvgpr_write_b32 a134, v220                             // 00000000757C: D3D94086 180001DC
	v_accvgpr_write_b32 a138, v221                             // 000000007584: D3D9408A 180001DD
	s_waitcnt lgkmcnt(0)                                       // 00000000758C: BF8CC07F
	s_barrier                                                  // 000000007590: BF8A0000
	v_perm_b32 v34, v180, v178, s54                            // 000000007594: D1ED0022 00DB65B4
	v_perm_b32 v35, v180, v178, s55                            // 00000000759C: D1ED0023 00DF65B4
	v_perm_b32 v36, v184, v182, s54                            // 0000000075A4: D1ED0024 00DB6DB8
	v_perm_b32 v37, v184, v182, s55                            // 0000000075AC: D1ED0025 00DF6DB8
	v_perm_b32 v218, v36, v34, s53                             // 0000000075B4: D1ED00DA 00D64524
	v_perm_b32 v219, v36, v34, s52                             // 0000000075BC: D1ED00DB 00D24524
	v_perm_b32 v220, v37, v35, s53                             // 0000000075C4: D1ED00DC 00D64725
	v_perm_b32 v221, v37, v35, s52                             // 0000000075CC: D1ED00DD 00D24725
	v_accvgpr_write_b32 a111, v218                             // 0000000075D4: D3D9406F 180001DA
	v_accvgpr_write_b32 a115, v219                             // 0000000075DC: D3D94073 180001DB
	v_accvgpr_write_b32 a119, v220                             // 0000000075E4: D3D94077 180001DC
	v_accvgpr_write_b32 a123, v221                             // 0000000075EC: D3D9407B 180001DD
	ds_read_b32 v58, v4 offset:21120                           // 0000000075F4: D86C5280 3A000004
	ds_read_b32 v59, v4 offset:21184                           // 0000000075FC: D86C52C0 3B000004
	ds_read_b32 v60, v4 offset:21248                           // 000000007604: D86C5300 3C000004
	ds_read_b32 v61, v4 offset:21312                           // 00000000760C: D86C5340 3D000004
	ds_read_b32 v62, v4 offset:21376                           // 000000007614: D86C5380 3E000004
	ds_read_b32 v63, v4 offset:21440                           // 00000000761C: D86C53C0 3F000004
	ds_read_b32 v64, v4 offset:21504                           // 000000007624: D86C5400 40000004
	ds_read_b32 v65, v4 offset:21568                           // 00000000762C: D86C5440 41000004
	ds_read_b32 v66, v4 offset:21632                           // 000000007634: D86C5480 42000004
	ds_read_b32 v67, v4 offset:21696                           // 00000000763C: D86C54C0 43000004
	ds_read_b32 v68, v4 offset:21760                           // 000000007644: D86C5500 44000004
	ds_read_b32 v69, v4 offset:21824                           // 00000000764C: D86C5540 45000004
	ds_read_b32 v70, v4 offset:21888                           // 000000007654: D86C5580 46000004
	ds_read_b32 v71, v4 offset:21952                           // 00000000765C: D86C55C0 47000004
	ds_read_b32 v72, v4 offset:22016                           // 000000007664: D86C5600 48000004
	ds_read_b32 v73, v4 offset:22080                           // 00000000766C: D86C5640 49000004
	v_perm_b32 v34, v181, v179, s54                            // 000000007674: D1ED0022 00DB67B5
	v_perm_b32 v35, v181, v179, s55                            // 00000000767C: D1ED0023 00DF67B5
	v_perm_b32 v36, v185, v183, s54                            // 000000007684: D1ED0024 00DB6FB9
	v_perm_b32 v37, v185, v183, s55                            // 00000000768C: D1ED0025 00DF6FB9
	v_perm_b32 v218, v36, v34, s53                             // 000000007694: D1ED00DA 00D64524
	v_perm_b32 v219, v36, v34, s52                             // 00000000769C: D1ED00DB 00D24524
	v_perm_b32 v220, v37, v35, s53                             // 0000000076A4: D1ED00DC 00D64725
	v_perm_b32 v221, v37, v35, s52                             // 0000000076AC: D1ED00DD 00D24725
	v_accvgpr_write_b32 a127, v218                             // 0000000076B4: D3D9407F 180001DA
	v_accvgpr_write_b32 a131, v219                             // 0000000076BC: D3D94083 180001DB
	v_accvgpr_write_b32 a135, v220                             // 0000000076C4: D3D94087 180001DC
	v_accvgpr_write_b32 a139, v221                             // 0000000076CC: D3D9408B 180001DD
	s_waitcnt lgkmcnt(0)                                       // 0000000076D4: BF8CC07F
	v_max3_f32 v8, v58, v59, v8                                // 0000000076D8: D1D30008 0422773A
	v_max3_f32 v8, v60, v61, v8                                // 0000000076E0: D1D30008 04227B3C
	v_max3_f32 v8, v62, v63, v8                                // 0000000076E8: D1D30008 04227F3E
	v_max3_f32 v8, v64, v65, v8                                // 0000000076F0: D1D30008 04228340
	v_max3_f32 v8, v66, v67, v8                                // 0000000076F8: D1D30008 04228742
	v_max3_f32 v8, v68, v69, v8                                // 000000007700: D1D30008 04228B44
	v_max3_f32 v8, v70, v71, v8                                // 000000007708: D1D30008 04228F46
	v_max3_f32 v8, v72, v73, v8                                // 000000007710: D1D30008 04229348
	v_cmp_eq_u32_e64 s[34:35], v11, v13                        // 000000007718: D0CA0022 00021B0B
	v_max_f32_e32 v14, v8, v13                                 // 000000007720: 161C1B08
	v_sub_f32_e32 v21, v13, v14                                // 000000007724: 042A1D0D
	v_cndmask_b32_e64 v21, v21, 0, s[34:35]                    // 000000007728: D1000015 00890115
	v_mov_b32_e32 v13, v14                                     // 000000007730: 7E1A030E
	v_mul_f32_e32 v9, s5, v14                                  // 000000007734: 0A121C05
	v_mul_f32_e32 v21, s5, v21                                 // 000000007738: 0A2A2A05
	v_exp_f32_e32 v21, v21                                     // 00000000773C: 7E2A4115
	s_and_b32 s56, s48, 0xff                                   // 000000007740: 8638FF30 000000FF
	v_mov_b32_e32 v46, s56                                     // 000000007748: 7E5C0238
	v_lshrrev_b32_e32 v47, 4, v0                               // 00000000774C: 205E0084
	v_mul_i32_i24_e32 v47, 4, v47                              // 000000007750: 0C5E5E84
	s_mul_i32 s56, s7, 16                                      // 000000007754: 92389007
	v_add_u32_e32 v47, s56, v47                                // 000000007758: 685E5E38
	v_add_u32_e32 v48, 1, v47                                  // 00000000775C: 68605E81
	v_add_u32_e32 v49, 2, v47                                  // 000000007760: 68625E82
	v_add_u32_e32 v50, 3, v47                                  // 000000007764: 68645E83
	v_cmp_lt_u32_e64 s[34:35], v47, v46                        // 000000007768: D0C90022 00025D2F
	v_add_u32_e32 v47, 64, v47                                 // 000000007770: 685E5EC0
	s_nop 0                                                    // 000000007774: BF800000
	v_cndmask_b32_e64 v86, v11, v86, s[34:35]                  // 000000007778: D1000056 008AAD0B
	v_cmp_lt_u32_e64 s[34:35], v48, v46                        // 000000007780: D0C90022 00025D30
	v_add_u32_e32 v48, 64, v48                                 // 000000007788: 686060C0
	s_nop 0                                                    // 00000000778C: BF800000
	v_cndmask_b32_e64 v87, v11, v87, s[34:35]                  // 000000007790: D1000057 008AAF0B
	v_cmp_lt_u32_e64 s[34:35], v49, v46                        // 000000007798: D0C90022 00025D31
	v_add_u32_e32 v49, 64, v49                                 // 0000000077A0: 686262C0
	s_nop 0                                                    // 0000000077A4: BF800000
	v_cndmask_b32_e64 v88, v11, v88, s[34:35]                  // 0000000077A8: D1000058 008AB10B
	v_cmp_lt_u32_e64 s[34:35], v50, v46                        // 0000000077B0: D0C90022 00025D32
	v_add_u32_e32 v50, 64, v50                                 // 0000000077B8: 686464C0
	s_nop 0                                                    // 0000000077BC: BF800000
	v_cndmask_b32_e64 v89, v11, v89, s[34:35]                  // 0000000077C0: D1000059 008AB30B
	v_fma_f32 v86, v86, s5, -v9                                // 0000000077C8: D1CB0056 84240B56
	v_fma_f32 v87, v87, s5, -v9                                // 0000000077D0: D1CB0057 84240B57
	v_fma_f32 v88, v88, s5, -v9                                // 0000000077D8: D1CB0058 84240B58
	v_fma_f32 v89, v89, s5, -v9                                // 0000000077E0: D1CB0059 84240B59
	v_exp_f32_e32 v86, v86                                     // 0000000077E8: 7EAC4156
	v_exp_f32_e32 v87, v87                                     // 0000000077EC: 7EAE4157
	v_exp_f32_e32 v88, v88                                     // 0000000077F0: 7EB04158
	v_exp_f32_e32 v89, v89                                     // 0000000077F4: 7EB24159
	v_mul_f32_e32 v16, v21, v16                                // 0000000077F8: 0A202115
	v_mov_b32_e32 v17, v86                                     // 0000000077FC: 7E220356
	v_add_f32_e32 v17, v87, v17                                // 000000007800: 02222357
	v_add_f32_e32 v17, v88, v17                                // 000000007804: 02222358
	;; [unrolled: 1-line block ×3, first 2 shown]
	v_add_f32_e32 v16, v17, v16                                // 00000000780C: 02202111
	v_cvt_pk_fp8_f32 v86, v86, v87                             // 000000007810: D2A20056 0002AF56
	v_cvt_pk_fp8_f32 v86, v88, v89 op_sel:[0,0,1]              // 000000007818: D2A24056 0002B358
	ds_write_b32 v7, v86                                       // 000000007820: D81A0000 00005607
	v_mov_b32_e32 v34, v21                                     // 000000007828: 7E440315
	v_mov_b32_e32 v35, v21                                     // 00000000782C: 7E460315
	v_pk_mul_f32 v[122:123], v[34:35], v[122:123]              // 000000007830: D3B1407A 1802F522
	v_pk_mul_f32 v[124:125], v[34:35], v[124:125]              // 000000007838: D3B1407C 1802F922
	v_pk_mul_f32 v[126:127], v[34:35], v[126:127]              // 000000007840: D3B1407E 1802FD22
	v_pk_mul_f32 v[128:129], v[34:35], v[128:129]              // 000000007848: D3B14080 18030122
	v_pk_mul_f32 v[130:131], v[34:35], v[130:131]              // 000000007850: D3B14082 18030522
	v_pk_mul_f32 v[132:133], v[34:35], v[132:133]              // 000000007858: D3B14084 18030922
	v_pk_mul_f32 v[134:135], v[34:35], v[134:135]              // 000000007860: D3B14086 18030D22
	v_pk_mul_f32 v[136:137], v[34:35], v[136:137]              // 000000007868: D3B14088 18031122
	v_pk_mul_f32 v[138:139], v[34:35], v[138:139]              // 000000007870: D3B1408A 18031522
	v_pk_mul_f32 v[140:141], v[34:35], v[140:141]              // 000000007878: D3B1408C 18031922
	v_pk_mul_f32 v[142:143], v[34:35], v[142:143]              // 000000007880: D3B1408E 18031D22
	v_pk_mul_f32 v[144:145], v[34:35], v[144:145]              // 000000007888: D3B14090 18032122
	v_pk_mul_f32 v[146:147], v[34:35], v[146:147]              // 000000007890: D3B14092 18032522
	v_pk_mul_f32 v[148:149], v[34:35], v[148:149]              // 000000007898: D3B14094 18032922
	v_pk_mul_f32 v[150:151], v[34:35], v[150:151]              // 0000000078A0: D3B14096 18032D22
	v_pk_mul_f32 v[152:153], v[34:35], v[152:153]              // 0000000078A8: D3B14098 18033122
	s_waitcnt lgkmcnt(0)                                       // 0000000078B0: BF8CC07F
	s_barrier                                                  // 0000000078B4: BF8A0000
	ds_read_b64 v[86:87], v6                                   // 0000000078B8: D8EC0000 56000006
	ds_read_b64 v[88:89], v6 offset:32                         // 0000000078C0: D8EC0020 58000006
	v_mul_u32_u24_dpp v42, v27, v10 row_newbcast:0 row_mask:0xf bank_mask:0xf// 0000000078C8: 105414FA FF01501B
	v_mul_u32_u24_dpp v43, v27, v10 row_newbcast:1 row_mask:0xf bank_mask:0xf// 0000000078D0: 105614FA FF01511B
	v_mul_u32_u24_dpp v44, v27, v10 row_newbcast:2 row_mask:0xf bank_mask:0xf// 0000000078D8: 105814FA FF01521B
	v_mul_u32_u24_dpp v45, v27, v10 row_newbcast:3 row_mask:0xf bank_mask:0xf// 0000000078E0: 105A14FA FF01531B
	v_mul_u32_u24_dpp v46, v27, v10 row_newbcast:4 row_mask:0xf bank_mask:0xf// 0000000078E8: 105C14FA FF01541B
	v_mul_u32_u24_dpp v47, v27, v10 row_newbcast:5 row_mask:0xf bank_mask:0xf// 0000000078F0: 105E14FA FF01551B
	v_mul_u32_u24_dpp v48, v27, v10 row_newbcast:6 row_mask:0xf bank_mask:0xf// 0000000078F8: 106014FA FF01561B
	v_mul_u32_u24_dpp v49, v27, v10 row_newbcast:7 row_mask:0xf bank_mask:0xf// 000000007900: 106214FA FF01571B
	v_mul_u32_u24_dpp v50, v27, v10 row_newbcast:8 row_mask:0xf bank_mask:0xf// 000000007908: 106414FA FF01581B
	v_mul_u32_u24_dpp v51, v27, v10 row_newbcast:9 row_mask:0xf bank_mask:0xf// 000000007910: 106614FA FF01591B
	v_mul_u32_u24_dpp v52, v27, v10 row_newbcast:10 row_mask:0xf bank_mask:0xf// 000000007918: 106814FA FF015A1B
	v_mul_u32_u24_dpp v53, v27, v10 row_newbcast:11 row_mask:0xf bank_mask:0xf// 000000007920: 106A14FA FF015B1B
	v_mul_u32_u24_dpp v54, v27, v10 row_newbcast:12 row_mask:0xf bank_mask:0xf// 000000007928: 106C14FA FF015C1B
	v_mul_u32_u24_dpp v55, v27, v10 row_newbcast:13 row_mask:0xf bank_mask:0xf// 000000007930: 106E14FA FF015D1B
	v_mul_u32_u24_dpp v56, v27, v10 row_newbcast:14 row_mask:0xf bank_mask:0xf// 000000007938: 107014FA FF015E1B
	v_mul_u32_u24_dpp v57, v27, v10 row_newbcast:15 row_mask:0xf bank_mask:0xf// 000000007940: 107214FA FF015F1B
	v_add_u32_dpp v42, v29, v42 row_newbcast:0 row_mask:0xf bank_mask:0xf// 000000007948: 685454FA FF01501D
	v_add_u32_dpp v43, v29, v43 row_newbcast:1 row_mask:0xf bank_mask:0xf// 000000007950: 685656FA FF01511D
	v_add_u32_dpp v44, v29, v44 row_newbcast:2 row_mask:0xf bank_mask:0xf// 000000007958: 685858FA FF01521D
	v_add_u32_dpp v45, v29, v45 row_newbcast:3 row_mask:0xf bank_mask:0xf// 000000007960: 685A5AFA FF01531D
	v_add_u32_dpp v46, v29, v46 row_newbcast:4 row_mask:0xf bank_mask:0xf// 000000007968: 685C5CFA FF01541D
	v_add_u32_dpp v47, v29, v47 row_newbcast:5 row_mask:0xf bank_mask:0xf// 000000007970: 685E5EFA FF01551D
	v_add_u32_dpp v48, v29, v48 row_newbcast:6 row_mask:0xf bank_mask:0xf// 000000007978: 686060FA FF01561D
	v_add_u32_dpp v49, v29, v49 row_newbcast:7 row_mask:0xf bank_mask:0xf// 000000007980: 686262FA FF01571D
	v_add_u32_dpp v50, v29, v50 row_newbcast:8 row_mask:0xf bank_mask:0xf// 000000007988: 686464FA FF01581D
	v_add_u32_dpp v51, v29, v51 row_newbcast:9 row_mask:0xf bank_mask:0xf// 000000007990: 686666FA FF01591D
	v_add_u32_dpp v52, v29, v52 row_newbcast:10 row_mask:0xf bank_mask:0xf// 000000007998: 686868FA FF015A1D
	v_add_u32_dpp v53, v29, v53 row_newbcast:11 row_mask:0xf bank_mask:0xf// 0000000079A0: 686A6AFA FF015B1D
	v_add_u32_dpp v54, v29, v54 row_newbcast:12 row_mask:0xf bank_mask:0xf// 0000000079A8: 686C6CFA FF015C1D
	v_add_u32_dpp v55, v29, v55 row_newbcast:13 row_mask:0xf bank_mask:0xf// 0000000079B0: 686E6EFA FF015D1D
	v_add_u32_dpp v56, v29, v56 row_newbcast:14 row_mask:0xf bank_mask:0xf// 0000000079B8: 687070FA FF015E1D
	v_add_u32_dpp v57, v29, v57 row_newbcast:15 row_mask:0xf bank_mask:0xf// 0000000079C0: 687272FA FF015F1D
	s_mov_b32 s56, m0                                          // 0000000079C8: BEB8007C
	s_set_gpr_idx_on s51, gpr_idx(SRC0)                        // 0000000079CC: BF110133
	v_add_u32_e32 v38, v42, v3                                 // 0000000079D0: 684C072A
	v_add_u32_e32 v39, v43, v3                                 // 0000000079D4: 684E072B
	v_add_u32_e32 v40, v44, v3                                 // 0000000079D8: 6850072C
	v_add_u32_e32 v41, v45, v3                                 // 0000000079DC: 6852072D
	s_set_gpr_idx_off                                          // 0000000079E0: BF9C0000
	s_mov_b32 m0, s56                                          // 0000000079E4: BEFC0038
	v_add_u32_e32 v42, v42, v2                                 // 0000000079E8: 6854052A
	v_add_u32_e32 v43, v43, v2                                 // 0000000079EC: 6856052B
	v_add_u32_e32 v44, v44, v2                                 // 0000000079F0: 6858052C
	v_add_u32_e32 v45, v45, v2                                 // 0000000079F4: 685A052D
	v_add_u32_e32 v46, v46, v2                                 // 0000000079F8: 685C052E
	v_add_u32_e32 v47, v47, v2                                 // 0000000079FC: 685E052F
	v_add_u32_e32 v48, v48, v2                                 // 000000007A00: 68600530
	v_add_u32_e32 v49, v49, v2                                 // 000000007A04: 68620531
	v_add_u32_e32 v50, v50, v2                                 // 000000007A08: 68640532
	v_add_u32_e32 v51, v51, v2                                 // 000000007A0C: 68660533
	v_add_u32_e32 v52, v52, v2                                 // 000000007A10: 68680534
	v_add_u32_e32 v53, v53, v2                                 // 000000007A14: 686A0535
	v_add_u32_e32 v54, v54, v2                                 // 000000007A18: 686C0536
	v_add_u32_e32 v55, v55, v2                                 // 000000007A1C: 686E0537
	v_add_u32_e32 v56, v56, v2                                 // 000000007A20: 68700538
	v_add_u32_e32 v57, v57, v2                                 // 000000007A24: 68720539
	s_waitcnt lgkmcnt(0)                                       // 000000007A28: BF8CC07F
	s_waitcnt vmcnt(0)                                         // 000000007A2C: BF8C0F70
	s_barrier                                                  // 000000007A30: BF8A0000
	v_mfma_f32_16x16x32_fp8_fp8 v[90:93], a[108:109], v[82:83], v[90:93]// 000000007A34: D3F3005A 0D6AA56C
	v_mfma_f32_16x16x32_fp8_fp8 v[90:93], a[110:111], v[84:85], v[90:93]// 000000007A3C: D3F3005A 0D6AA96E
	v_mfma_f32_16x16x32_fp8_fp8 v[94:97], a[112:113], v[82:83], v[94:97]// 000000007A44: D3F3005E 0D7AA570
	v_mfma_f32_16x16x32_fp8_fp8 v[94:97], a[114:115], v[84:85], v[94:97]// 000000007A4C: D3F3005E 0D7AA972
	v_mfma_f32_16x16x32_fp8_fp8 v[98:101], a[116:117], v[82:83], v[98:101]// 000000007A54: D3F30062 0D8AA574
	v_mfma_f32_16x16x32_fp8_fp8 v[98:101], a[118:119], v[84:85], v[98:101]// 000000007A5C: D3F30062 0D8AA976
	v_mfma_f32_16x16x32_fp8_fp8 v[102:105], a[120:121], v[82:83], v[102:105]// 000000007A64: D3F30066 0D9AA578
	v_mfma_f32_16x16x32_fp8_fp8 v[102:105], a[122:123], v[84:85], v[102:105]// 000000007A6C: D3F30066 0D9AA97A
	v_mfma_f32_16x16x32_fp8_fp8 v[106:109], a[124:125], v[82:83], v[106:109]// 000000007A74: D3F3006A 0DAAA57C
	v_mfma_f32_16x16x32_fp8_fp8 v[106:109], a[126:127], v[84:85], v[106:109]// 000000007A7C: D3F3006A 0DAAA97E
	v_mfma_f32_16x16x32_fp8_fp8 v[110:113], a[128:129], v[82:83], v[110:113]// 000000007A84: D3F3006E 0DBAA580
	v_mfma_f32_16x16x32_fp8_fp8 v[110:113], a[130:131], v[84:85], v[110:113]// 000000007A8C: D3F3006E 0DBAA982
	v_mfma_f32_16x16x32_fp8_fp8 v[114:117], a[132:133], v[82:83], v[114:117]// 000000007A94: D3F30072 0DCAA584
	v_mfma_f32_16x16x32_fp8_fp8 v[114:117], a[134:135], v[84:85], v[114:117]// 000000007A9C: D3F30072 0DCAA986
	v_mfma_f32_16x16x32_fp8_fp8 v[118:121], a[136:137], v[82:83], v[118:121]// 000000007AA4: D3F30076 0DDAA588
	v_mfma_f32_16x16x32_fp8_fp8 v[118:121], a[138:139], v[84:85], v[118:121]// 000000007AAC: D3F30076 0DDAA98A
	v_mfma_f32_16x16x32_fp8_fp8 v[122:125], a[108:109], v[86:87], v[122:125]// 000000007AB4: D3F3007A 0DEAAD6C
	v_mfma_f32_16x16x32_fp8_fp8 v[122:125], a[110:111], v[88:89], v[122:125]// 000000007ABC: D3F3007A 0DEAB16E
	v_mfma_f32_16x16x32_fp8_fp8 v[126:129], a[112:113], v[86:87], v[126:129]// 000000007AC4: D3F3007E 0DFAAD70
	v_mfma_f32_16x16x32_fp8_fp8 v[126:129], a[114:115], v[88:89], v[126:129]// 000000007ACC: D3F3007E 0DFAB172
	v_mfma_f32_16x16x32_fp8_fp8 v[130:133], a[116:117], v[86:87], v[130:133]// 000000007AD4: D3F30082 0E0AAD74
	v_mfma_f32_16x16x32_fp8_fp8 v[130:133], a[118:119], v[88:89], v[130:133]// 000000007ADC: D3F30082 0E0AB176
	v_mfma_f32_16x16x32_fp8_fp8 v[134:137], a[120:121], v[86:87], v[134:137]// 000000007AE4: D3F30086 0E1AAD78
	v_mfma_f32_16x16x32_fp8_fp8 v[134:137], a[122:123], v[88:89], v[134:137]// 000000007AEC: D3F30086 0E1AB17A
	v_mfma_f32_16x16x32_fp8_fp8 v[138:141], a[124:125], v[86:87], v[138:141]// 000000007AF4: D3F3008A 0E2AAD7C
	v_mfma_f32_16x16x32_fp8_fp8 v[138:141], a[126:127], v[88:89], v[138:141]// 000000007AFC: D3F3008A 0E2AB17E
	v_mfma_f32_16x16x32_fp8_fp8 v[142:145], a[128:129], v[86:87], v[142:145]// 000000007B04: D3F3008E 0E3AAD80
	v_mfma_f32_16x16x32_fp8_fp8 v[142:145], a[130:131], v[88:89], v[142:145]// 000000007B0C: D3F3008E 0E3AB182
	v_mfma_f32_16x16x32_fp8_fp8 v[146:149], a[132:133], v[86:87], v[146:149]// 000000007B14: D3F30092 0E4AAD84
	v_mfma_f32_16x16x32_fp8_fp8 v[146:149], a[134:135], v[88:89], v[146:149]// 000000007B1C: D3F30092 0E4AB186
	v_mfma_f32_16x16x32_fp8_fp8 v[150:153], a[136:137], v[86:87], v[150:153]// 000000007B24: D3F30096 0E5AAD88
	v_mfma_f32_16x16x32_fp8_fp8 v[150:153], a[138:139], v[88:89], v[150:153]// 000000007B2C: D3F30096 0E5AB18A
	s_nop 8                                                    // 000000007B34: BF800008
	s_branch label_1992                                        // 000000007B38: BF820340

0000000000007b3c <label_160F>:
	s_waitcnt vmcnt(0) expcnt(0) lgkmcnt(0)                    // 000000007B3C: BF8C0000
	s_barrier                                                  // 000000007B40: BF8A0000
	v_mfma_f32_16x16x32_fp8_fp8 v[82:85], a[72:73], a[0:1], 0  // 000000007B44: D3F30052 1A020148
	v_mfma_f32_16x16x32_fp8_fp8 v[82:85], a[74:75], a[2:3], v[82:85]// 000000007B4C: D3F30052 1D4A054A
	v_mfma_f32_16x16x32_fp8_fp8 v[82:85], a[76:77], a[4:5], v[82:85]// 000000007B54: D3F30052 1D4A094C
	v_mfma_f32_16x16x32_fp8_fp8 v[82:85], a[78:79], a[6:7], v[82:85]// 000000007B5C: D3F30052 1D4A0D4E
	v_mfma_f32_16x16x32_fp8_fp8 v[82:85], a[80:81], a[8:9], v[82:85]// 000000007B64: D3F30052 1D4A1150
	v_mfma_f32_16x16x32_fp8_fp8 v[82:85], a[82:83], a[10:11], v[82:85]// 000000007B6C: D3F30052 1D4A1552
	v_mfma_f32_16x16x32_fp8_fp8 v[82:85], a[84:85], a[12:13], v[82:85]// 000000007B74: D3F30052 1D4A1954
	v_mfma_f32_16x16x32_fp8_fp8 v[82:85], a[86:87], a[14:15], v[82:85]// 000000007B7C: D3F30052 1D4A1D56
	v_mfma_f32_16x16x32_fp8_fp8 v[82:85], a[88:89], a[16:17], v[82:85]// 000000007B84: D3F30052 1D4A2158
	v_mfma_f32_16x16x32_fp8_fp8 v[82:85], a[90:91], a[18:19], v[82:85]// 000000007B8C: D3F30052 1D4A255A
	v_mfma_f32_16x16x32_fp8_fp8 v[82:85], a[92:93], a[20:21], v[82:85]// 000000007B94: D3F30052 1D4A295C
	v_mfma_f32_16x16x32_fp8_fp8 v[82:85], a[94:95], a[22:23], v[82:85]// 000000007B9C: D3F30052 1D4A2D5E
	v_mfma_f32_16x16x32_fp8_fp8 v[82:85], a[96:97], a[24:25], v[82:85]// 000000007BA4: D3F30052 1D4A3160
	v_mfma_f32_16x16x32_fp8_fp8 v[82:85], a[98:99], a[26:27], v[82:85]// 000000007BAC: D3F30052 1D4A3562
	v_mfma_f32_16x16x32_fp8_fp8 v[82:85], a[100:101], a[28:29], v[82:85]// 000000007BB4: D3F30052 1D4A3964
	v_mfma_f32_16x16x32_fp8_fp8 v[82:85], a[102:103], a[30:31], v[82:85]// 000000007BBC: D3F30052 1D4A3D66
	v_mfma_f32_16x16x32_fp8_fp8 v[82:85], a[104:105], a[32:33], v[82:85]// 000000007BC4: D3F30052 1D4A4168
	v_mfma_f32_16x16x32_fp8_fp8 v[82:85], a[106:107], a[34:35], v[82:85]// 000000007BCC: D3F30052 1D4A456A
	v_mfma_f32_16x16x32_fp8_fp8 v[86:89], a[72:73], a[36:37], 0// 000000007BD4: D3F30056 1A024948
	v_mfma_f32_16x16x32_fp8_fp8 v[86:89], a[74:75], a[38:39], v[86:89]// 000000007BDC: D3F30056 1D5A4D4A
	v_mfma_f32_16x16x32_fp8_fp8 v[86:89], a[76:77], a[40:41], v[86:89]// 000000007BE4: D3F30056 1D5A514C
	v_mfma_f32_16x16x32_fp8_fp8 v[86:89], a[78:79], a[42:43], v[86:89]// 000000007BEC: D3F30056 1D5A554E
	v_mfma_f32_16x16x32_fp8_fp8 v[86:89], a[80:81], a[44:45], v[86:89]// 000000007BF4: D3F30056 1D5A5950
	v_mfma_f32_16x16x32_fp8_fp8 v[86:89], a[82:83], a[46:47], v[86:89]// 000000007BFC: D3F30056 1D5A5D52
	v_mfma_f32_16x16x32_fp8_fp8 v[86:89], a[84:85], a[48:49], v[86:89]// 000000007C04: D3F30056 1D5A6154
	v_mfma_f32_16x16x32_fp8_fp8 v[86:89], a[86:87], a[50:51], v[86:89]// 000000007C0C: D3F30056 1D5A6556
	v_mfma_f32_16x16x32_fp8_fp8 v[86:89], a[88:89], a[52:53], v[86:89]// 000000007C14: D3F30056 1D5A6958
	v_mfma_f32_16x16x32_fp8_fp8 v[86:89], a[90:91], a[54:55], v[86:89]// 000000007C1C: D3F30056 1D5A6D5A
	v_mfma_f32_16x16x32_fp8_fp8 v[86:89], a[92:93], a[56:57], v[86:89]// 000000007C24: D3F30056 1D5A715C
	v_mfma_f32_16x16x32_fp8_fp8 v[86:89], a[94:95], a[58:59], v[86:89]// 000000007C2C: D3F30056 1D5A755E
	v_mfma_f32_16x16x32_fp8_fp8 v[86:89], a[96:97], a[60:61], v[86:89]// 000000007C34: D3F30056 1D5A7960
	v_mfma_f32_16x16x32_fp8_fp8 v[86:89], a[98:99], a[62:63], v[86:89]// 000000007C3C: D3F30056 1D5A7D62
	v_mfma_f32_16x16x32_fp8_fp8 v[86:89], a[100:101], a[64:65], v[86:89]// 000000007C44: D3F30056 1D5A8164
	v_mfma_f32_16x16x32_fp8_fp8 v[86:89], a[102:103], a[66:67], v[86:89]// 000000007C4C: D3F30056 1D5A8566
	v_mfma_f32_16x16x32_fp8_fp8 v[86:89], a[104:105], a[68:69], v[86:89]// 000000007C54: D3F30056 1D5A8968
	v_mfma_f32_16x16x32_fp8_fp8 v[86:89], a[106:107], a[70:71], v[86:89]// 000000007C5C: D3F30056 1D5A8D6A
	s_nop 8                                                    // 000000007C64: BF800008
	s_cmp_le_i32 s83, s82                                      // 000000007C68: BF055253
	s_cbranch_scc1 label_167F                                  // 000000007C6C: BF850023
	s_add_u32 s57, s82, 0                                      // 000000007C70: 80398052
	v_mov_b32_e32 v38, s57                                     // 000000007C74: 7E4C0239
	s_sub_u32 s56, s83, 63                                     // 000000007C78: 80B8BF53
	s_mul_i32 s57, s7, 16                                      // 000000007C7C: 92399007
	v_lshrrev_b32_e32 v47, 4, v0                               // 000000007C80: 205E0084
	v_mul_i32_i24_e32 v47, 4, v47                              // 000000007C84: 0C5E5E84
	v_add_u32_e32 v47, s56, v47                                // 000000007C88: 685E5E38
	v_add_u32_e32 v47, s57, v47                                // 000000007C8C: 685E5E39
	v_add_u32_e32 v48, 1, v47                                  // 000000007C90: 68605E81
	v_add_u32_e32 v49, 2, v47                                  // 000000007C94: 68625E82
	v_add_u32_e32 v50, 3, v47                                  // 000000007C98: 68645E83
	v_cmp_le_u32_e64 s[34:35], v47, v38                        // 000000007C9C: D0CB0022 00024D2F
	v_add_u32_e32 v47, 64, v47                                 // 000000007CA4: 685E5EC0
	s_nop 0                                                    // 000000007CA8: BF800000
	v_cndmask_b32_e64 v82, v11, v82, s[34:35]                  // 000000007CAC: D1000052 008AA50B
	v_cmp_le_u32_e64 s[34:35], v48, v38                        // 000000007CB4: D0CB0022 00024D30
	v_add_u32_e32 v48, 64, v48                                 // 000000007CBC: 686060C0
	s_nop 0                                                    // 000000007CC0: BF800000
	v_cndmask_b32_e64 v83, v11, v83, s[34:35]                  // 000000007CC4: D1000053 008AA70B
	v_cmp_le_u32_e64 s[34:35], v49, v38                        // 000000007CCC: D0CB0022 00024D31
	v_add_u32_e32 v49, 64, v49                                 // 000000007CD4: 686262C0
	s_nop 0                                                    // 000000007CD8: BF800000
	v_cndmask_b32_e64 v84, v11, v84, s[34:35]                  // 000000007CDC: D1000054 008AA90B
	v_cmp_le_u32_e64 s[34:35], v50, v38                        // 000000007CE4: D0CB0022 00024D32
	v_add_u32_e32 v50, 64, v50                                 // 000000007CEC: 686464C0
	s_nop 0                                                    // 000000007CF0: BF800000
	v_cndmask_b32_e64 v85, v11, v85, s[34:35]                  // 000000007CF4: D1000055 008AAB0B

0000000000007cfc <label_167F>:
	v_mov_b32_e32 v8, v82                                      // 000000007CFC: 7E100352
	v_max3_f32 v8, v82, v83, v8                                // 000000007D00: D1D30008 0422A752
	v_max3_f32 v8, v84, v85, v8                                // 000000007D08: D1D30008 0422AB54
	ds_write_b32 v5, v8 offset:21120                           // 000000007D10: D81A5280 00000805
	v_perm_b32 v34, v188, v186, s54                            // 000000007D18: D1ED0022 00DB75BC
	v_perm_b32 v35, v188, v186, s55                            // 000000007D20: D1ED0023 00DF75BC
	v_perm_b32 v36, v192, v190, s54                            // 000000007D28: D1ED0024 00DB7DC0
	v_perm_b32 v37, v192, v190, s55                            // 000000007D30: D1ED0025 00DF7DC0
	v_perm_b32 v218, v36, v34, s53                             // 000000007D38: D1ED00DA 00D64524
	v_perm_b32 v219, v36, v34, s52                             // 000000007D40: D1ED00DB 00D24524
	v_perm_b32 v220, v37, v35, s53                             // 000000007D48: D1ED00DC 00D64725
	v_perm_b32 v221, v37, v35, s52                             // 000000007D50: D1ED00DD 00D24725
	v_accvgpr_write_b32 a108, v218                             // 000000007D58: D3D9406C 180001DA
	v_accvgpr_write_b32 a112, v219                             // 000000007D60: D3D94070 180001DB
	v_accvgpr_write_b32 a116, v220                             // 000000007D68: D3D94074 180001DC
	v_accvgpr_write_b32 a120, v221                             // 000000007D70: D3D94078 180001DD
	v_perm_b32 v34, v189, v187, s54                            // 000000007D78: D1ED0022 00DB77BD
	v_perm_b32 v35, v189, v187, s55                            // 000000007D80: D1ED0023 00DF77BD
	v_perm_b32 v36, v193, v191, s54                            // 000000007D88: D1ED0024 00DB7FC1
	v_perm_b32 v37, v193, v191, s55                            // 000000007D90: D1ED0025 00DF7FC1
	v_perm_b32 v218, v36, v34, s53                             // 000000007D98: D1ED00DA 00D64524
	v_perm_b32 v219, v36, v34, s52                             // 000000007DA0: D1ED00DB 00D24524
	v_perm_b32 v220, v37, v35, s53                             // 000000007DA8: D1ED00DC 00D64725
	v_perm_b32 v221, v37, v35, s52                             // 000000007DB0: D1ED00DD 00D24725
	v_accvgpr_write_b32 a124, v218                             // 000000007DB8: D3D9407C 180001DA
	v_accvgpr_write_b32 a128, v219                             // 000000007DC0: D3D94080 180001DB
	v_accvgpr_write_b32 a132, v220                             // 000000007DC8: D3D94084 180001DC
	v_accvgpr_write_b32 a136, v221                             // 000000007DD0: D3D94088 180001DD
	s_waitcnt lgkmcnt(0)                                       // 000000007DD8: BF8CC07F
	s_barrier                                                  // 000000007DDC: BF8A0000
	v_perm_b32 v34, v196, v194, s54                            // 000000007DE0: D1ED0022 00DB85C4
	v_perm_b32 v35, v196, v194, s55                            // 000000007DE8: D1ED0023 00DF85C4
	v_perm_b32 v36, v200, v198, s54                            // 000000007DF0: D1ED0024 00DB8DC8
	v_perm_b32 v37, v200, v198, s55                            // 000000007DF8: D1ED0025 00DF8DC8
	v_perm_b32 v218, v36, v34, s53                             // 000000007E00: D1ED00DA 00D64524
	v_perm_b32 v219, v36, v34, s52                             // 000000007E08: D1ED00DB 00D24524
	v_perm_b32 v220, v37, v35, s53                             // 000000007E10: D1ED00DC 00D64725
	v_perm_b32 v221, v37, v35, s52                             // 000000007E18: D1ED00DD 00D24725
	v_accvgpr_write_b32 a109, v218                             // 000000007E20: D3D9406D 180001DA
	v_accvgpr_write_b32 a113, v219                             // 000000007E28: D3D94071 180001DB
	v_accvgpr_write_b32 a117, v220                             // 000000007E30: D3D94075 180001DC
	v_accvgpr_write_b32 a121, v221                             // 000000007E38: D3D94079 180001DD
	ds_read_b32 v58, v4 offset:21120                           // 000000007E40: D86C5280 3A000004
	ds_read_b32 v59, v4 offset:21184                           // 000000007E48: D86C52C0 3B000004
	ds_read_b32 v60, v4 offset:21248                           // 000000007E50: D86C5300 3C000004
	ds_read_b32 v61, v4 offset:21312                           // 000000007E58: D86C5340 3D000004
	ds_read_b32 v62, v4 offset:21376                           // 000000007E60: D86C5380 3E000004
	ds_read_b32 v63, v4 offset:21440                           // 000000007E68: D86C53C0 3F000004
	ds_read_b32 v64, v4 offset:21504                           // 000000007E70: D86C5400 40000004
	ds_read_b32 v65, v4 offset:21568                           // 000000007E78: D86C5440 41000004
	ds_read_b32 v66, v4 offset:21632                           // 000000007E80: D86C5480 42000004
	ds_read_b32 v67, v4 offset:21696                           // 000000007E88: D86C54C0 43000004
	ds_read_b32 v68, v4 offset:21760                           // 000000007E90: D86C5500 44000004
	ds_read_b32 v69, v4 offset:21824                           // 000000007E98: D86C5540 45000004
	ds_read_b32 v70, v4 offset:21888                           // 000000007EA0: D86C5580 46000004
	ds_read_b32 v71, v4 offset:21952                           // 000000007EA8: D86C55C0 47000004
	ds_read_b32 v72, v4 offset:22016                           // 000000007EB0: D86C5600 48000004
	ds_read_b32 v73, v4 offset:22080                           // 000000007EB8: D86C5640 49000004
	v_perm_b32 v34, v197, v195, s54                            // 000000007EC0: D1ED0022 00DB87C5
	v_perm_b32 v35, v197, v195, s55                            // 000000007EC8: D1ED0023 00DF87C5
	v_perm_b32 v36, v201, v199, s54                            // 000000007ED0: D1ED0024 00DB8FC9
	v_perm_b32 v37, v201, v199, s55                            // 000000007ED8: D1ED0025 00DF8FC9
	v_perm_b32 v218, v36, v34, s53                             // 000000007EE0: D1ED00DA 00D64524
	v_perm_b32 v219, v36, v34, s52                             // 000000007EE8: D1ED00DB 00D24524
	v_perm_b32 v220, v37, v35, s53                             // 000000007EF0: D1ED00DC 00D64725
	v_perm_b32 v221, v37, v35, s52                             // 000000007EF8: D1ED00DD 00D24725
	v_accvgpr_write_b32 a125, v218                             // 000000007F00: D3D9407D 180001DA
	v_accvgpr_write_b32 a129, v219                             // 000000007F08: D3D94081 180001DB
	v_accvgpr_write_b32 a133, v220                             // 000000007F10: D3D94085 180001DC
	v_accvgpr_write_b32 a137, v221                             // 000000007F18: D3D94089 180001DD
	s_waitcnt lgkmcnt(0)                                       // 000000007F20: BF8CC07F
	v_max3_f32 v8, v58, v59, v8                                // 000000007F24: D1D30008 0422773A
	v_max3_f32 v8, v60, v61, v8                                // 000000007F2C: D1D30008 04227B3C
	v_max3_f32 v8, v62, v63, v8                                // 000000007F34: D1D30008 04227F3E
	v_max3_f32 v8, v64, v65, v8                                // 000000007F3C: D1D30008 04228340
	v_max3_f32 v8, v66, v67, v8                                // 000000007F44: D1D30008 04228742
	v_max3_f32 v8, v68, v69, v8                                // 000000007F4C: D1D30008 04228B44
	v_max3_f32 v8, v70, v71, v8                                // 000000007F54: D1D30008 04228F46
	v_max3_f32 v8, v72, v73, v8                                // 000000007F5C: D1D30008 04229348
	v_cmp_eq_u32_e64 s[34:35], v11, v12                        // 000000007F64: D0CA0022 0002190B
	v_max_f32_e32 v14, v8, v12                                 // 000000007F6C: 161C1908
	v_sub_f32_e32 v20, v12, v14                                // 000000007F70: 04281D0C
	v_cndmask_b32_e64 v20, v20, 0, s[34:35]                    // 000000007F74: D1000014 00890114
	v_mov_b32_e32 v12, v14                                     // 000000007F7C: 7E18030E
	v_mul_f32_e32 v9, s5, v14                                  // 000000007F80: 0A121C05
	v_mul_f32_e32 v20, s5, v20                                 // 000000007F84: 0A282805
	v_exp_f32_e32 v20, v20                                     // 000000007F88: 7E284114
	s_and_b32 s56, s48, 0xff                                   // 000000007F8C: 8638FF30 000000FF
	v_mov_b32_e32 v46, s56                                     // 000000007F94: 7E5C0238
	v_lshrrev_b32_e32 v47, 4, v0                               // 000000007F98: 205E0084
	v_mul_i32_i24_e32 v47, 4, v47                              // 000000007F9C: 0C5E5E84
	s_mul_i32 s56, s7, 16                                      // 000000007FA0: 92389007
	v_add_u32_e32 v47, s56, v47                                // 000000007FA4: 685E5E38
	v_add_u32_e32 v48, 1, v47                                  // 000000007FA8: 68605E81
	v_add_u32_e32 v49, 2, v47                                  // 000000007FAC: 68625E82
	v_add_u32_e32 v50, 3, v47                                  // 000000007FB0: 68645E83
	v_cmp_lt_u32_e64 s[34:35], v47, v46                        // 000000007FB4: D0C90022 00025D2F
	v_add_u32_e32 v47, 64, v47                                 // 000000007FBC: 685E5EC0
	s_nop 0                                                    // 000000007FC0: BF800000
	v_cndmask_b32_e64 v82, v11, v82, s[34:35]                  // 000000007FC4: D1000052 008AA50B
	v_cmp_lt_u32_e64 s[34:35], v48, v46                        // 000000007FCC: D0C90022 00025D30
	v_add_u32_e32 v48, 64, v48                                 // 000000007FD4: 686060C0
	s_nop 0                                                    // 000000007FD8: BF800000
	v_cndmask_b32_e64 v83, v11, v83, s[34:35]                  // 000000007FDC: D1000053 008AA70B
	v_cmp_lt_u32_e64 s[34:35], v49, v46                        // 000000007FE4: D0C90022 00025D31
	v_add_u32_e32 v49, 64, v49                                 // 000000007FEC: 686262C0
	s_nop 0                                                    // 000000007FF0: BF800000
	v_cndmask_b32_e64 v84, v11, v84, s[34:35]                  // 000000007FF4: D1000054 008AA90B
	v_cmp_lt_u32_e64 s[34:35], v50, v46                        // 000000007FFC: D0C90022 00025D32
	v_add_u32_e32 v50, 64, v50                                 // 000000008004: 686464C0
	s_nop 0                                                    // 000000008008: BF800000
	v_cndmask_b32_e64 v85, v11, v85, s[34:35]                  // 00000000800C: D1000055 008AAB0B
	v_fma_f32 v82, v82, s5, -v9                                // 000000008014: D1CB0052 84240B52
	v_fma_f32 v83, v83, s5, -v9                                // 00000000801C: D1CB0053 84240B53
	v_fma_f32 v84, v84, s5, -v9                                // 000000008024: D1CB0054 84240B54
	v_fma_f32 v85, v85, s5, -v9                                // 00000000802C: D1CB0055 84240B55
	v_exp_f32_e32 v82, v82                                     // 000000008034: 7EA44152
	v_exp_f32_e32 v83, v83                                     // 000000008038: 7EA64153
	v_exp_f32_e32 v84, v84                                     // 00000000803C: 7EA84154
	v_exp_f32_e32 v85, v85                                     // 000000008040: 7EAA4155
	v_mul_f32_e32 v15, v20, v15                                // 000000008044: 0A1E1F14
	v_mov_b32_e32 v17, v82                                     // 000000008048: 7E220352
	v_add_f32_e32 v17, v83, v17                                // 00000000804C: 02222353
	v_add_f32_e32 v17, v84, v17                                // 000000008050: 02222354
	v_add_f32_e32 v17, v85, v17                                // 000000008054: 02222355
	v_add_f32_e32 v15, v17, v15                                // 000000008058: 021E1F11
	v_cvt_pk_fp8_f32 v82, v82, v83                             // 00000000805C: D2A20052 0002A752
	v_cvt_pk_fp8_f32 v82, v84, v85 op_sel:[0,0,1]              // 000000008064: D2A24052 0002AB54
	ds_write_b32 v7, v82                                       // 00000000806C: D81A0000 00005207
	s_waitcnt lgkmcnt(0)                                       // 000000008074: BF8CC07F
	s_barrier                                                  // 000000008078: BF8A0000
	ds_read_b64 v[82:83], v6                                   // 00000000807C: D8EC0000 52000006
	ds_read_b64 v[84:85], v6 offset:32                         // 000000008084: D8EC0020 54000006
	v_mov_b32_e32 v34, v20                                     // 00000000808C: 7E440314
	v_mov_b32_e32 v35, v20                                     // 000000008090: 7E460314
	v_pk_mul_f32 v[90:91], v[34:35], v[90:91]                  // 000000008094: D3B1405A 1802B522
	v_pk_mul_f32 v[92:93], v[34:35], v[92:93]                  // 00000000809C: D3B1405C 1802B922
	v_pk_mul_f32 v[94:95], v[34:35], v[94:95]                  // 0000000080A4: D3B1405E 1802BD22
	v_pk_mul_f32 v[96:97], v[34:35], v[96:97]                  // 0000000080AC: D3B14060 1802C122
	v_pk_mul_f32 v[98:99], v[34:35], v[98:99]                  // 0000000080B4: D3B14062 1802C522
	v_pk_mul_f32 v[100:101], v[34:35], v[100:101]              // 0000000080BC: D3B14064 1802C922
	v_pk_mul_f32 v[102:103], v[34:35], v[102:103]              // 0000000080C4: D3B14066 1802CD22
	v_pk_mul_f32 v[104:105], v[34:35], v[104:105]              // 0000000080CC: D3B14068 1802D122
	v_pk_mul_f32 v[106:107], v[34:35], v[106:107]              // 0000000080D4: D3B1406A 1802D522
	v_pk_mul_f32 v[108:109], v[34:35], v[108:109]              // 0000000080DC: D3B1406C 1802D922
	v_pk_mul_f32 v[110:111], v[34:35], v[110:111]              // 0000000080E4: D3B1406E 1802DD22
	v_pk_mul_f32 v[112:113], v[34:35], v[112:113]              // 0000000080EC: D3B14070 1802E122
	v_pk_mul_f32 v[114:115], v[34:35], v[114:115]              // 0000000080F4: D3B14072 1802E522
	v_pk_mul_f32 v[116:117], v[34:35], v[116:117]              // 0000000080FC: D3B14074 1802E922
	v_pk_mul_f32 v[118:119], v[34:35], v[118:119]              // 000000008104: D3B14076 1802ED22
	v_pk_mul_f32 v[120:121], v[34:35], v[120:121]              // 00000000810C: D3B14078 1802F122
	s_waitcnt lgkmcnt(0)                                       // 000000008114: BF8CC07F
	s_cmp_le_i32 s83, s82                                      // 000000008118: BF055253
	s_cbranch_scc1 label_17AB                                  // 00000000811C: BF850023
	s_add_u32 s57, s82, 1                                      // 000000008120: 80398152
	v_mov_b32_e32 v38, s57                                     // 000000008124: 7E4C0239
	s_sub_u32 s56, s83, 63                                     // 000000008128: 80B8BF53
	s_mul_i32 s57, s7, 16                                      // 00000000812C: 92399007
	v_lshrrev_b32_e32 v47, 4, v0                               // 000000008130: 205E0084
	v_mul_i32_i24_e32 v47, 4, v47                              // 000000008134: 0C5E5E84
	v_add_u32_e32 v47, s56, v47                                // 000000008138: 685E5E38
	v_add_u32_e32 v47, s57, v47                                // 00000000813C: 685E5E39
	v_add_u32_e32 v48, 1, v47                                  // 000000008140: 68605E81
	v_add_u32_e32 v49, 2, v47                                  // 000000008144: 68625E82
	v_add_u32_e32 v50, 3, v47                                  // 000000008148: 68645E83
	v_cmp_le_u32_e64 s[34:35], v47, v38                        // 00000000814C: D0CB0022 00024D2F
	v_add_u32_e32 v47, 64, v47                                 // 000000008154: 685E5EC0
	s_nop 0                                                    // 000000008158: BF800000
	v_cndmask_b32_e64 v86, v11, v86, s[34:35]                  // 00000000815C: D1000056 008AAD0B
	v_cmp_le_u32_e64 s[34:35], v48, v38                        // 000000008164: D0CB0022 00024D30
	v_add_u32_e32 v48, 64, v48                                 // 00000000816C: 686060C0
	s_nop 0                                                    // 000000008170: BF800000
	v_cndmask_b32_e64 v87, v11, v87, s[34:35]                  // 000000008174: D1000057 008AAF0B
	v_cmp_le_u32_e64 s[34:35], v49, v38                        // 00000000817C: D0CB0022 00024D31
	v_add_u32_e32 v49, 64, v49                                 // 000000008184: 686262C0
	s_nop 0                                                    // 000000008188: BF800000
	v_cndmask_b32_e64 v88, v11, v88, s[34:35]                  // 00000000818C: D1000058 008AB10B
	v_cmp_le_u32_e64 s[34:35], v50, v38                        // 000000008194: D0CB0022 00024D32
	v_add_u32_e32 v50, 64, v50                                 // 00000000819C: 686464C0
	s_nop 0                                                    // 0000000081A0: BF800000
	v_cndmask_b32_e64 v89, v11, v89, s[34:35]                  // 0000000081A4: D1000059 008AB30B

00000000000081ac <label_17AB>:
	s_add_u32 s83, s84, s83                                    // 0000000081AC: 80535354
	v_mov_b32_e32 v8, v86                                      // 0000000081B0: 7E100356
	v_max3_f32 v8, v86, v87, v8                                // 0000000081B4: D1D30008 0422AF56
	v_max3_f32 v8, v88, v89, v8                                // 0000000081BC: D1D30008 0422B358
	ds_write_b32 v5, v8 offset:21120                           // 0000000081C4: D81A5280 00000805
	v_perm_b32 v34, v204, v202, s54                            // 0000000081CC: D1ED0022 00DB95CC
	v_perm_b32 v35, v204, v202, s55                            // 0000000081D4: D1ED0023 00DF95CC
	v_perm_b32 v36, v208, v206, s54                            // 0000000081DC: D1ED0024 00DB9DD0
	v_perm_b32 v37, v208, v206, s55                            // 0000000081E4: D1ED0025 00DF9DD0
	v_perm_b32 v218, v36, v34, s53                             // 0000000081EC: D1ED00DA 00D64524
	v_perm_b32 v219, v36, v34, s52                             // 0000000081F4: D1ED00DB 00D24524
	v_perm_b32 v220, v37, v35, s53                             // 0000000081FC: D1ED00DC 00D64725
	v_perm_b32 v221, v37, v35, s52                             // 000000008204: D1ED00DD 00D24725
	v_accvgpr_write_b32 a110, v218                             // 00000000820C: D3D9406E 180001DA
	v_accvgpr_write_b32 a114, v219                             // 000000008214: D3D94072 180001DB
	v_accvgpr_write_b32 a118, v220                             // 00000000821C: D3D94076 180001DC
	v_accvgpr_write_b32 a122, v221                             // 000000008224: D3D9407A 180001DD
	v_perm_b32 v34, v205, v203, s54                            // 00000000822C: D1ED0022 00DB97CD
	v_perm_b32 v35, v205, v203, s55                            // 000000008234: D1ED0023 00DF97CD
	v_perm_b32 v36, v209, v207, s54                            // 00000000823C: D1ED0024 00DB9FD1
	v_perm_b32 v37, v209, v207, s55                            // 000000008244: D1ED0025 00DF9FD1
	v_perm_b32 v218, v36, v34, s53                             // 00000000824C: D1ED00DA 00D64524
	v_perm_b32 v219, v36, v34, s52                             // 000000008254: D1ED00DB 00D24524
	v_perm_b32 v220, v37, v35, s53                             // 00000000825C: D1ED00DC 00D64725
	v_perm_b32 v221, v37, v35, s52                             // 000000008264: D1ED00DD 00D24725
	v_accvgpr_write_b32 a126, v218                             // 00000000826C: D3D9407E 180001DA
	v_accvgpr_write_b32 a130, v219                             // 000000008274: D3D94082 180001DB
	v_accvgpr_write_b32 a134, v220                             // 00000000827C: D3D94086 180001DC
	v_accvgpr_write_b32 a138, v221                             // 000000008284: D3D9408A 180001DD
	s_waitcnt lgkmcnt(0)                                       // 00000000828C: BF8CC07F
	s_barrier                                                  // 000000008290: BF8A0000
	v_perm_b32 v34, v212, v210, s54                            // 000000008294: D1ED0022 00DBA5D4
	v_perm_b32 v35, v212, v210, s55                            // 00000000829C: D1ED0023 00DFA5D4
	v_perm_b32 v36, v216, v214, s54                            // 0000000082A4: D1ED0024 00DBADD8
	v_perm_b32 v37, v216, v214, s55                            // 0000000082AC: D1ED0025 00DFADD8
	v_perm_b32 v218, v36, v34, s53                             // 0000000082B4: D1ED00DA 00D64524
	v_perm_b32 v219, v36, v34, s52                             // 0000000082BC: D1ED00DB 00D24524
	v_perm_b32 v220, v37, v35, s53                             // 0000000082C4: D1ED00DC 00D64725
	v_perm_b32 v221, v37, v35, s52                             // 0000000082CC: D1ED00DD 00D24725
	v_accvgpr_write_b32 a111, v218                             // 0000000082D4: D3D9406F 180001DA
	v_accvgpr_write_b32 a115, v219                             // 0000000082DC: D3D94073 180001DB
	v_accvgpr_write_b32 a119, v220                             // 0000000082E4: D3D94077 180001DC
	v_accvgpr_write_b32 a123, v221                             // 0000000082EC: D3D9407B 180001DD
	ds_read_b32 v58, v4 offset:21120                           // 0000000082F4: D86C5280 3A000004
	ds_read_b32 v59, v4 offset:21184                           // 0000000082FC: D86C52C0 3B000004
	ds_read_b32 v60, v4 offset:21248                           // 000000008304: D86C5300 3C000004
	ds_read_b32 v61, v4 offset:21312                           // 00000000830C: D86C5340 3D000004
	ds_read_b32 v62, v4 offset:21376                           // 000000008314: D86C5380 3E000004
	ds_read_b32 v63, v4 offset:21440                           // 00000000831C: D86C53C0 3F000004
	ds_read_b32 v64, v4 offset:21504                           // 000000008324: D86C5400 40000004
	ds_read_b32 v65, v4 offset:21568                           // 00000000832C: D86C5440 41000004
	ds_read_b32 v66, v4 offset:21632                           // 000000008334: D86C5480 42000004
	ds_read_b32 v67, v4 offset:21696                           // 00000000833C: D86C54C0 43000004
	ds_read_b32 v68, v4 offset:21760                           // 000000008344: D86C5500 44000004
	ds_read_b32 v69, v4 offset:21824                           // 00000000834C: D86C5540 45000004
	ds_read_b32 v70, v4 offset:21888                           // 000000008354: D86C5580 46000004
	ds_read_b32 v71, v4 offset:21952                           // 00000000835C: D86C55C0 47000004
	ds_read_b32 v72, v4 offset:22016                           // 000000008364: D86C5600 48000004
	ds_read_b32 v73, v4 offset:22080                           // 00000000836C: D86C5640 49000004
	v_perm_b32 v34, v213, v211, s54                            // 000000008374: D1ED0022 00DBA7D5
	v_perm_b32 v35, v213, v211, s55                            // 00000000837C: D1ED0023 00DFA7D5
	v_perm_b32 v36, v217, v215, s54                            // 000000008384: D1ED0024 00DBAFD9
	v_perm_b32 v37, v217, v215, s55                            // 00000000838C: D1ED0025 00DFAFD9
	v_perm_b32 v218, v36, v34, s53                             // 000000008394: D1ED00DA 00D64524
	v_perm_b32 v219, v36, v34, s52                             // 00000000839C: D1ED00DB 00D24524
	v_perm_b32 v220, v37, v35, s53                             // 0000000083A4: D1ED00DC 00D64725
	v_perm_b32 v221, v37, v35, s52                             // 0000000083AC: D1ED00DD 00D24725
	v_accvgpr_write_b32 a127, v218                             // 0000000083B4: D3D9407F 180001DA
	v_accvgpr_write_b32 a131, v219                             // 0000000083BC: D3D94083 180001DB
	v_accvgpr_write_b32 a135, v220                             // 0000000083C4: D3D94087 180001DC
	v_accvgpr_write_b32 a139, v221                             // 0000000083CC: D3D9408B 180001DD
	s_waitcnt lgkmcnt(0)                                       // 0000000083D4: BF8CC07F
	v_max3_f32 v8, v58, v59, v8                                // 0000000083D8: D1D30008 0422773A
	v_max3_f32 v8, v60, v61, v8                                // 0000000083E0: D1D30008 04227B3C
	v_max3_f32 v8, v62, v63, v8                                // 0000000083E8: D1D30008 04227F3E
	v_max3_f32 v8, v64, v65, v8                                // 0000000083F0: D1D30008 04228340
	v_max3_f32 v8, v66, v67, v8                                // 0000000083F8: D1D30008 04228742
	v_max3_f32 v8, v68, v69, v8                                // 000000008400: D1D30008 04228B44
	v_max3_f32 v8, v70, v71, v8                                // 000000008408: D1D30008 04228F46
	v_max3_f32 v8, v72, v73, v8                                // 000000008410: D1D30008 04229348
	v_cmp_eq_u32_e64 s[34:35], v11, v13                        // 000000008418: D0CA0022 00021B0B
	v_max_f32_e32 v14, v8, v13                                 // 000000008420: 161C1B08
	v_sub_f32_e32 v21, v13, v14                                // 000000008424: 042A1D0D
	v_cndmask_b32_e64 v21, v21, 0, s[34:35]                    // 000000008428: D1000015 00890115
	v_mov_b32_e32 v13, v14                                     // 000000008430: 7E1A030E
	v_mul_f32_e32 v9, s5, v14                                  // 000000008434: 0A121C05
	v_mul_f32_e32 v21, s5, v21                                 // 000000008438: 0A2A2A05
	v_exp_f32_e32 v21, v21                                     // 00000000843C: 7E2A4115
	s_and_b32 s56, s48, 0xff                                   // 000000008440: 8638FF30 000000FF
	v_mov_b32_e32 v46, s56                                     // 000000008448: 7E5C0238
	v_lshrrev_b32_e32 v47, 4, v0                               // 00000000844C: 205E0084
	v_mul_i32_i24_e32 v47, 4, v47                              // 000000008450: 0C5E5E84
	s_mul_i32 s56, s7, 16                                      // 000000008454: 92389007
	v_add_u32_e32 v47, s56, v47                                // 000000008458: 685E5E38
	v_add_u32_e32 v48, 1, v47                                  // 00000000845C: 68605E81
	v_add_u32_e32 v49, 2, v47                                  // 000000008460: 68625E82
	v_add_u32_e32 v50, 3, v47                                  // 000000008464: 68645E83
	v_cmp_lt_u32_e64 s[34:35], v47, v46                        // 000000008468: D0C90022 00025D2F
	v_add_u32_e32 v47, 64, v47                                 // 000000008470: 685E5EC0
	s_nop 0                                                    // 000000008474: BF800000
	v_cndmask_b32_e64 v86, v11, v86, s[34:35]                  // 000000008478: D1000056 008AAD0B
	v_cmp_lt_u32_e64 s[34:35], v48, v46                        // 000000008480: D0C90022 00025D30
	v_add_u32_e32 v48, 64, v48                                 // 000000008488: 686060C0
	s_nop 0                                                    // 00000000848C: BF800000
	v_cndmask_b32_e64 v87, v11, v87, s[34:35]                  // 000000008490: D1000057 008AAF0B
	v_cmp_lt_u32_e64 s[34:35], v49, v46                        // 000000008498: D0C90022 00025D31
	v_add_u32_e32 v49, 64, v49                                 // 0000000084A0: 686262C0
	s_nop 0                                                    // 0000000084A4: BF800000
	v_cndmask_b32_e64 v88, v11, v88, s[34:35]                  // 0000000084A8: D1000058 008AB10B
	v_cmp_lt_u32_e64 s[34:35], v50, v46                        // 0000000084B0: D0C90022 00025D32
	v_add_u32_e32 v50, 64, v50                                 // 0000000084B8: 686464C0
	s_nop 0                                                    // 0000000084BC: BF800000
	v_cndmask_b32_e64 v89, v11, v89, s[34:35]                  // 0000000084C0: D1000059 008AB30B
	v_fma_f32 v86, v86, s5, -v9                                // 0000000084C8: D1CB0056 84240B56
	v_fma_f32 v87, v87, s5, -v9                                // 0000000084D0: D1CB0057 84240B57
	v_fma_f32 v88, v88, s5, -v9                                // 0000000084D8: D1CB0058 84240B58
	v_fma_f32 v89, v89, s5, -v9                                // 0000000084E0: D1CB0059 84240B59
	v_exp_f32_e32 v86, v86                                     // 0000000084E8: 7EAC4156
	v_exp_f32_e32 v87, v87                                     // 0000000084EC: 7EAE4157
	v_exp_f32_e32 v88, v88                                     // 0000000084F0: 7EB04158
	v_exp_f32_e32 v89, v89                                     // 0000000084F4: 7EB24159
	v_mul_f32_e32 v16, v21, v16                                // 0000000084F8: 0A202115
	v_mov_b32_e32 v17, v86                                     // 0000000084FC: 7E220356
	v_add_f32_e32 v17, v87, v17                                // 000000008500: 02222357
	v_add_f32_e32 v17, v88, v17                                // 000000008504: 02222358
	;; [unrolled: 1-line block ×3, first 2 shown]
	v_add_f32_e32 v16, v17, v16                                // 00000000850C: 02202111
	v_cvt_pk_fp8_f32 v86, v86, v87                             // 000000008510: D2A20056 0002AF56
	v_cvt_pk_fp8_f32 v86, v88, v89 op_sel:[0,0,1]              // 000000008518: D2A24056 0002B358
	ds_write_b32 v7, v86                                       // 000000008520: D81A0000 00005607
	v_mov_b32_e32 v34, v21                                     // 000000008528: 7E440315
	v_mov_b32_e32 v35, v21                                     // 00000000852C: 7E460315
	v_pk_mul_f32 v[122:123], v[34:35], v[122:123]              // 000000008530: D3B1407A 1802F522
	v_pk_mul_f32 v[124:125], v[34:35], v[124:125]              // 000000008538: D3B1407C 1802F922
	v_pk_mul_f32 v[126:127], v[34:35], v[126:127]              // 000000008540: D3B1407E 1802FD22
	v_pk_mul_f32 v[128:129], v[34:35], v[128:129]              // 000000008548: D3B14080 18030122
	v_pk_mul_f32 v[130:131], v[34:35], v[130:131]              // 000000008550: D3B14082 18030522
	v_pk_mul_f32 v[132:133], v[34:35], v[132:133]              // 000000008558: D3B14084 18030922
	v_pk_mul_f32 v[134:135], v[34:35], v[134:135]              // 000000008560: D3B14086 18030D22
	v_pk_mul_f32 v[136:137], v[34:35], v[136:137]              // 000000008568: D3B14088 18031122
	v_pk_mul_f32 v[138:139], v[34:35], v[138:139]              // 000000008570: D3B1408A 18031522
	v_pk_mul_f32 v[140:141], v[34:35], v[140:141]              // 000000008578: D3B1408C 18031922
	v_pk_mul_f32 v[142:143], v[34:35], v[142:143]              // 000000008580: D3B1408E 18031D22
	v_pk_mul_f32 v[144:145], v[34:35], v[144:145]              // 000000008588: D3B14090 18032122
	v_pk_mul_f32 v[146:147], v[34:35], v[146:147]              // 000000008590: D3B14092 18032522
	v_pk_mul_f32 v[148:149], v[34:35], v[148:149]              // 000000008598: D3B14094 18032922
	v_pk_mul_f32 v[150:151], v[34:35], v[150:151]              // 0000000085A0: D3B14096 18032D22
	v_pk_mul_f32 v[152:153], v[34:35], v[152:153]              // 0000000085A8: D3B14098 18033122
	s_waitcnt lgkmcnt(0)                                       // 0000000085B0: BF8CC07F
	s_barrier                                                  // 0000000085B4: BF8A0000
	ds_read_b64 v[86:87], v6                                   // 0000000085B8: D8EC0000 56000006
	ds_read_b64 v[88:89], v6 offset:32                         // 0000000085C0: D8EC0020 58000006
	v_mul_u32_u24_dpp v42, v26, v10 row_newbcast:0 row_mask:0xf bank_mask:0xf// 0000000085C8: 105414FA FF01501A
	v_mul_u32_u24_dpp v43, v26, v10 row_newbcast:1 row_mask:0xf bank_mask:0xf// 0000000085D0: 105614FA FF01511A
	v_mul_u32_u24_dpp v44, v26, v10 row_newbcast:2 row_mask:0xf bank_mask:0xf// 0000000085D8: 105814FA FF01521A
	v_mul_u32_u24_dpp v45, v26, v10 row_newbcast:3 row_mask:0xf bank_mask:0xf// 0000000085E0: 105A14FA FF01531A
	v_mul_u32_u24_dpp v46, v26, v10 row_newbcast:4 row_mask:0xf bank_mask:0xf// 0000000085E8: 105C14FA FF01541A
	v_mul_u32_u24_dpp v47, v26, v10 row_newbcast:5 row_mask:0xf bank_mask:0xf// 0000000085F0: 105E14FA FF01551A
	v_mul_u32_u24_dpp v48, v26, v10 row_newbcast:6 row_mask:0xf bank_mask:0xf// 0000000085F8: 106014FA FF01561A
	v_mul_u32_u24_dpp v49, v26, v10 row_newbcast:7 row_mask:0xf bank_mask:0xf// 000000008600: 106214FA FF01571A
	v_mul_u32_u24_dpp v50, v26, v10 row_newbcast:8 row_mask:0xf bank_mask:0xf// 000000008608: 106414FA FF01581A
	v_mul_u32_u24_dpp v51, v26, v10 row_newbcast:9 row_mask:0xf bank_mask:0xf// 000000008610: 106614FA FF01591A
	v_mul_u32_u24_dpp v52, v26, v10 row_newbcast:10 row_mask:0xf bank_mask:0xf// 000000008618: 106814FA FF015A1A
	v_mul_u32_u24_dpp v53, v26, v10 row_newbcast:11 row_mask:0xf bank_mask:0xf// 000000008620: 106A14FA FF015B1A
	v_mul_u32_u24_dpp v54, v26, v10 row_newbcast:12 row_mask:0xf bank_mask:0xf// 000000008628: 106C14FA FF015C1A
	v_mul_u32_u24_dpp v55, v26, v10 row_newbcast:13 row_mask:0xf bank_mask:0xf// 000000008630: 106E14FA FF015D1A
	v_mul_u32_u24_dpp v56, v26, v10 row_newbcast:14 row_mask:0xf bank_mask:0xf// 000000008638: 107014FA FF015E1A
	v_mul_u32_u24_dpp v57, v26, v10 row_newbcast:15 row_mask:0xf bank_mask:0xf// 000000008640: 107214FA FF015F1A
	v_add_u32_dpp v42, v29, v42 row_newbcast:0 row_mask:0xf bank_mask:0xf// 000000008648: 685454FA FF01501D
	v_add_u32_dpp v43, v29, v43 row_newbcast:1 row_mask:0xf bank_mask:0xf// 000000008650: 685656FA FF01511D
	v_add_u32_dpp v44, v29, v44 row_newbcast:2 row_mask:0xf bank_mask:0xf// 000000008658: 685858FA FF01521D
	v_add_u32_dpp v45, v29, v45 row_newbcast:3 row_mask:0xf bank_mask:0xf// 000000008660: 685A5AFA FF01531D
	v_add_u32_dpp v46, v29, v46 row_newbcast:4 row_mask:0xf bank_mask:0xf// 000000008668: 685C5CFA FF01541D
	v_add_u32_dpp v47, v29, v47 row_newbcast:5 row_mask:0xf bank_mask:0xf// 000000008670: 685E5EFA FF01551D
	v_add_u32_dpp v48, v29, v48 row_newbcast:6 row_mask:0xf bank_mask:0xf// 000000008678: 686060FA FF01561D
	v_add_u32_dpp v49, v29, v49 row_newbcast:7 row_mask:0xf bank_mask:0xf// 000000008680: 686262FA FF01571D
	v_add_u32_dpp v50, v29, v50 row_newbcast:8 row_mask:0xf bank_mask:0xf// 000000008688: 686464FA FF01581D
	v_add_u32_dpp v51, v29, v51 row_newbcast:9 row_mask:0xf bank_mask:0xf// 000000008690: 686666FA FF01591D
	v_add_u32_dpp v52, v29, v52 row_newbcast:10 row_mask:0xf bank_mask:0xf// 000000008698: 686868FA FF015A1D
	v_add_u32_dpp v53, v29, v53 row_newbcast:11 row_mask:0xf bank_mask:0xf// 0000000086A0: 686A6AFA FF015B1D
	v_add_u32_dpp v54, v29, v54 row_newbcast:12 row_mask:0xf bank_mask:0xf// 0000000086A8: 686C6CFA FF015C1D
	v_add_u32_dpp v55, v29, v55 row_newbcast:13 row_mask:0xf bank_mask:0xf// 0000000086B0: 686E6EFA FF015D1D
	v_add_u32_dpp v56, v29, v56 row_newbcast:14 row_mask:0xf bank_mask:0xf// 0000000086B8: 687070FA FF015E1D
	v_add_u32_dpp v57, v29, v57 row_newbcast:15 row_mask:0xf bank_mask:0xf// 0000000086C0: 687272FA FF015F1D
	s_mov_b32 s56, m0                                          // 0000000086C8: BEB8007C
	s_set_gpr_idx_on s51, gpr_idx(SRC0)                        // 0000000086CC: BF110133
	v_add_u32_e32 v38, v42, v3                                 // 0000000086D0: 684C072A
	v_add_u32_e32 v39, v43, v3                                 // 0000000086D4: 684E072B
	v_add_u32_e32 v40, v44, v3                                 // 0000000086D8: 6850072C
	v_add_u32_e32 v41, v45, v3                                 // 0000000086DC: 6852072D
	s_set_gpr_idx_off                                          // 0000000086E0: BF9C0000
	s_mov_b32 m0, s56                                          // 0000000086E4: BEFC0038
	v_add_u32_e32 v42, v42, v2                                 // 0000000086E8: 6854052A
	v_add_u32_e32 v43, v43, v2                                 // 0000000086EC: 6856052B
	v_add_u32_e32 v44, v44, v2                                 // 0000000086F0: 6858052C
	v_add_u32_e32 v45, v45, v2                                 // 0000000086F4: 685A052D
	v_add_u32_e32 v46, v46, v2                                 // 0000000086F8: 685C052E
	v_add_u32_e32 v47, v47, v2                                 // 0000000086FC: 685E052F
	v_add_u32_e32 v48, v48, v2                                 // 000000008700: 68600530
	v_add_u32_e32 v49, v49, v2                                 // 000000008704: 68620531
	;; [unrolled: 1-line block ×3, first 2 shown]
	v_add_u32_e32 v51, v51, v2                                 // 00000000870C: 68660533
	v_add_u32_e32 v52, v52, v2                                 // 000000008710: 68680534
	v_add_u32_e32 v53, v53, v2                                 // 000000008714: 686A0535
	v_add_u32_e32 v54, v54, v2                                 // 000000008718: 686C0536
	v_add_u32_e32 v55, v55, v2                                 // 00000000871C: 686E0537
	v_add_u32_e32 v56, v56, v2                                 // 000000008720: 68700538
	v_add_u32_e32 v57, v57, v2                                 // 000000008724: 68720539
	s_waitcnt lgkmcnt(0)                                       // 000000008728: BF8CC07F
	s_waitcnt vmcnt(0)                                         // 00000000872C: BF8C0F70
	s_barrier                                                  // 000000008730: BF8A0000
	v_mfma_f32_16x16x32_fp8_fp8 v[90:93], a[108:109], v[82:83], v[90:93]// 000000008734: D3F3005A 0D6AA56C
	v_mfma_f32_16x16x32_fp8_fp8 v[90:93], a[110:111], v[84:85], v[90:93]// 00000000873C: D3F3005A 0D6AA96E
	v_mfma_f32_16x16x32_fp8_fp8 v[94:97], a[112:113], v[82:83], v[94:97]// 000000008744: D3F3005E 0D7AA570
	v_mfma_f32_16x16x32_fp8_fp8 v[94:97], a[114:115], v[84:85], v[94:97]// 00000000874C: D3F3005E 0D7AA972
	v_mfma_f32_16x16x32_fp8_fp8 v[98:101], a[116:117], v[82:83], v[98:101]// 000000008754: D3F30062 0D8AA574
	v_mfma_f32_16x16x32_fp8_fp8 v[98:101], a[118:119], v[84:85], v[98:101]// 00000000875C: D3F30062 0D8AA976
	v_mfma_f32_16x16x32_fp8_fp8 v[102:105], a[120:121], v[82:83], v[102:105]// 000000008764: D3F30066 0D9AA578
	v_mfma_f32_16x16x32_fp8_fp8 v[102:105], a[122:123], v[84:85], v[102:105]// 00000000876C: D3F30066 0D9AA97A
	v_mfma_f32_16x16x32_fp8_fp8 v[106:109], a[124:125], v[82:83], v[106:109]// 000000008774: D3F3006A 0DAAA57C
	v_mfma_f32_16x16x32_fp8_fp8 v[106:109], a[126:127], v[84:85], v[106:109]// 00000000877C: D3F3006A 0DAAA97E
	v_mfma_f32_16x16x32_fp8_fp8 v[110:113], a[128:129], v[82:83], v[110:113]// 000000008784: D3F3006E 0DBAA580
	v_mfma_f32_16x16x32_fp8_fp8 v[110:113], a[130:131], v[84:85], v[110:113]// 00000000878C: D3F3006E 0DBAA982
	v_mfma_f32_16x16x32_fp8_fp8 v[114:117], a[132:133], v[82:83], v[114:117]// 000000008794: D3F30072 0DCAA584
	v_mfma_f32_16x16x32_fp8_fp8 v[114:117], a[134:135], v[84:85], v[114:117]// 00000000879C: D3F30072 0DCAA986
	v_mfma_f32_16x16x32_fp8_fp8 v[118:121], a[136:137], v[82:83], v[118:121]// 0000000087A4: D3F30076 0DDAA588
	v_mfma_f32_16x16x32_fp8_fp8 v[118:121], a[138:139], v[84:85], v[118:121]// 0000000087AC: D3F30076 0DDAA98A
	v_mfma_f32_16x16x32_fp8_fp8 v[122:125], a[108:109], v[86:87], v[122:125]// 0000000087B4: D3F3007A 0DEAAD6C
	v_mfma_f32_16x16x32_fp8_fp8 v[122:125], a[110:111], v[88:89], v[122:125]// 0000000087BC: D3F3007A 0DEAB16E
	v_mfma_f32_16x16x32_fp8_fp8 v[126:129], a[112:113], v[86:87], v[126:129]// 0000000087C4: D3F3007E 0DFAAD70
	v_mfma_f32_16x16x32_fp8_fp8 v[126:129], a[114:115], v[88:89], v[126:129]// 0000000087CC: D3F3007E 0DFAB172
	v_mfma_f32_16x16x32_fp8_fp8 v[130:133], a[116:117], v[86:87], v[130:133]// 0000000087D4: D3F30082 0E0AAD74
	v_mfma_f32_16x16x32_fp8_fp8 v[130:133], a[118:119], v[88:89], v[130:133]// 0000000087DC: D3F30082 0E0AB176
	v_mfma_f32_16x16x32_fp8_fp8 v[134:137], a[120:121], v[86:87], v[134:137]// 0000000087E4: D3F30086 0E1AAD78
	v_mfma_f32_16x16x32_fp8_fp8 v[134:137], a[122:123], v[88:89], v[134:137]// 0000000087EC: D3F30086 0E1AB17A
	v_mfma_f32_16x16x32_fp8_fp8 v[138:141], a[124:125], v[86:87], v[138:141]// 0000000087F4: D3F3008A 0E2AAD7C
	v_mfma_f32_16x16x32_fp8_fp8 v[138:141], a[126:127], v[88:89], v[138:141]// 0000000087FC: D3F3008A 0E2AB17E
	v_mfma_f32_16x16x32_fp8_fp8 v[142:145], a[128:129], v[86:87], v[142:145]// 000000008804: D3F3008E 0E3AAD80
	v_mfma_f32_16x16x32_fp8_fp8 v[142:145], a[130:131], v[88:89], v[142:145]// 00000000880C: D3F3008E 0E3AB182
	v_mfma_f32_16x16x32_fp8_fp8 v[146:149], a[132:133], v[86:87], v[146:149]// 000000008814: D3F30092 0E4AAD84
	v_mfma_f32_16x16x32_fp8_fp8 v[146:149], a[134:135], v[88:89], v[146:149]// 00000000881C: D3F30092 0E4AB186
	v_mfma_f32_16x16x32_fp8_fp8 v[150:153], a[136:137], v[86:87], v[150:153]// 000000008824: D3F30096 0E5AAD88
	v_mfma_f32_16x16x32_fp8_fp8 v[150:153], a[138:139], v[88:89], v[150:153]// 00000000882C: D3F30096 0E5AB18A
	s_nop 8                                                    // 000000008834: BF800008
	s_branch label_1992                                        // 000000008838: BF820000

000000000000883c <label_1992>:
	ds_write_b32 v5, v15 offset:21120                          // 00000000883C: D81A5280 00000F05
	s_waitcnt lgkmcnt(0)                                       // 000000008844: BF8CC07F
	s_barrier                                                  // 000000008848: BF8A0000
	ds_read_b32 v58, v4 offset:21120                           // 00000000884C: D86C5280 3A000004
	ds_read_b32 v59, v4 offset:21184                           // 000000008854: D86C52C0 3B000004
	ds_read_b32 v60, v4 offset:21248                           // 00000000885C: D86C5300 3C000004
	ds_read_b32 v61, v4 offset:21312                           // 000000008864: D86C5340 3D000004
	ds_read_b32 v62, v4 offset:21376                           // 00000000886C: D86C5380 3E000004
	ds_read_b32 v63, v4 offset:21440                           // 000000008874: D86C53C0 3F000004
	ds_read_b32 v64, v4 offset:21504                           // 00000000887C: D86C5400 40000004
	ds_read_b32 v65, v4 offset:21568                           // 000000008884: D86C5440 41000004
	ds_read_b32 v66, v4 offset:21632                           // 00000000888C: D86C5480 42000004
	ds_read_b32 v67, v4 offset:21696                           // 000000008894: D86C54C0 43000004
	ds_read_b32 v68, v4 offset:21760                           // 00000000889C: D86C5500 44000004
	ds_read_b32 v69, v4 offset:21824                           // 0000000088A4: D86C5540 45000004
	ds_read_b32 v70, v4 offset:21888                           // 0000000088AC: D86C5580 46000004
	ds_read_b32 v71, v4 offset:21952                           // 0000000088B4: D86C55C0 47000004
	ds_read_b32 v72, v4 offset:22016                           // 0000000088BC: D86C5600 48000004
	ds_read_b32 v73, v4 offset:22080                           // 0000000088C4: D86C5640 49000004
	s_waitcnt lgkmcnt(0)                                       // 0000000088CC: BF8CC07F
	v_mov_b32_e32 v15, 0                                       // 0000000088D0: 7E1E0280
	v_add_f32_e32 v15, v58, v15                                // 0000000088D4: 021E1F3A
	v_add_f32_e32 v15, v59, v15                                // 0000000088D8: 021E1F3B
	v_add_f32_e32 v15, v60, v15                                // 0000000088DC: 021E1F3C
	v_add_f32_e32 v15, v61, v15                                // 0000000088E0: 021E1F3D
	v_add_f32_e32 v15, v62, v15                                // 0000000088E4: 021E1F3E
	v_add_f32_e32 v15, v63, v15                                // 0000000088E8: 021E1F3F
	v_add_f32_e32 v15, v64, v15                                // 0000000088EC: 021E1F40
	v_add_f32_e32 v15, v65, v15                                // 0000000088F0: 021E1F41
	v_add_f32_e32 v15, v66, v15                                // 0000000088F4: 021E1F42
	v_add_f32_e32 v15, v67, v15                                // 0000000088F8: 021E1F43
	v_add_f32_e32 v15, v68, v15                                // 0000000088FC: 021E1F44
	v_add_f32_e32 v15, v69, v15                                // 000000008900: 021E1F45
	v_add_f32_e32 v15, v70, v15                                // 000000008904: 021E1F46
	v_add_f32_e32 v15, v71, v15                                // 000000008908: 021E1F47
	v_add_f32_e32 v15, v72, v15                                // 00000000890C: 021E1F48
	v_add_f32_e32 v15, v73, v15                                // 000000008910: 021E1F49
	v_mul_f32_e64 v34, v12, s64                                // 000000008914: D1050022 0000810C
	v_log_f32_e32 v35, v15                                     // 00000000891C: 7E46430F
	s_nop 1                                                    // 000000008920: BF800001
	v_rcp_f32_e32 v15, v15                                     // 000000008924: 7E1E450F
	s_nop 1                                                    // 000000008928: BF800001
	v_fma_f32 v44, v35, s63, v34                               // 00000000892C: D1CB002C 04887F23
	v_mul_f32_e32 v90, v15, v90                                // 000000008934: 0AB4B50F
	v_mul_f32_e32 v91, v15, v91                                // 000000008938: 0AB6B70F
	v_mul_f32_e32 v92, v15, v92                                // 00000000893C: 0AB8B90F
	v_mul_f32_e32 v93, v15, v93                                // 000000008940: 0ABABB0F
	v_mul_f32_e32 v94, v15, v94                                // 000000008944: 0ABCBD0F
	v_mul_f32_e32 v95, v15, v95                                // 000000008948: 0ABEBF0F
	v_mul_f32_e32 v96, v15, v96                                // 00000000894C: 0AC0C10F
	v_mul_f32_e32 v97, v15, v97                                // 000000008950: 0AC2C30F
	v_mul_f32_e32 v98, v15, v98                                // 000000008954: 0AC4C50F
	v_mul_f32_e32 v99, v15, v99                                // 000000008958: 0AC6C70F
	v_mul_f32_e32 v100, v15, v100                              // 00000000895C: 0AC8C90F
	v_mul_f32_e32 v101, v15, v101                              // 000000008960: 0ACACB0F
	v_mul_f32_e32 v102, v15, v102                              // 000000008964: 0ACCCD0F
	v_mul_f32_e32 v103, v15, v103                              // 000000008968: 0ACECF0F
	v_mul_f32_e32 v104, v15, v104                              // 00000000896C: 0AD0D10F
	v_mul_f32_e32 v105, v15, v105                              // 000000008970: 0AD2D30F
	v_mul_f32_e32 v106, v15, v106                              // 000000008974: 0AD4D50F
	v_mul_f32_e32 v107, v15, v107                              // 000000008978: 0AD6D70F
	v_mul_f32_e32 v108, v15, v108                              // 00000000897C: 0AD8D90F
	v_mul_f32_e32 v109, v15, v109                              // 000000008980: 0ADADB0F
	v_mul_f32_e32 v110, v15, v110                              // 000000008984: 0ADCDD0F
	v_mul_f32_e32 v111, v15, v111                              // 000000008988: 0ADEDF0F
	v_mul_f32_e32 v112, v15, v112                              // 00000000898C: 0AE0E10F
	v_mul_f32_e32 v113, v15, v113                              // 000000008990: 0AE2E30F
	v_mul_f32_e32 v114, v15, v114                              // 000000008994: 0AE4E50F
	v_mul_f32_e32 v115, v15, v115                              // 000000008998: 0AE6E70F
	v_mul_f32_e32 v116, v15, v116                              // 00000000899C: 0AE8E90F
	v_mul_f32_e32 v117, v15, v117                              // 0000000089A0: 0AEAEB0F
	v_mul_f32_e32 v118, v15, v118                              // 0000000089A4: 0AECED0F
	v_mul_f32_e32 v119, v15, v119                              // 0000000089A8: 0AEEEF0F
	v_mul_f32_e32 v120, v15, v120                              // 0000000089AC: 0AF0F10F
	v_mul_f32_e32 v121, v15, v121                              // 0000000089B0: 0AF2F30F
	s_cmp_lt_i32 s87, 0                                        // 0000000089B4: BF048057
	s_cbranch_scc0 label_1D7B                                  // 0000000089B8: BF840389
	s_waitcnt lgkmcnt(0)                                       // 0000000089BC: BF8CC07F
	s_barrier                                                  // 0000000089C0: BF8A0000
	v_lshlrev_b32_e32 v43, 1, v0                               // 0000000089C4: 24560081
	s_mul_i32 s56, s7, 0x410                                   // 0000000089C8: 9238FF07 00000410
	v_add_u32_e32 v43, s56, v43                                // 0000000089D0: 68565638
	v_lshlrev_b32_e32 v43, 2, v43                              // 0000000089D4: 24565682
	v_mov_b32_e32 v58, v90                                     // 0000000089D8: 7E74035A
	v_mov_b32_e32 v59, v94                                     // 0000000089DC: 7E76035E
	v_mov_b32_e32 v60, v98                                     // 0000000089E0: 7E780362
	v_mov_b32_e32 v61, v102                                    // 0000000089E4: 7E7A0366
	v_mul_f32_e32 v58, s43, v58                                // 0000000089E8: 0A74742B
	v_mul_f32_e32 v59, s43, v59                                // 0000000089EC: 0A76762B
	v_mul_f32_e32 v60, s43, v60                                // 0000000089F0: 0A78782B
	v_mul_f32_e32 v61, s43, v61                                // 0000000089F4: 0A7A7A2B
	v_cmp_u_f32_e64 s[34:35], v58, v58                         // 0000000089F8: D0480022 0002753A
	v_add3_u32 v30, v58, v33, 1                                // 000000008A00: D1FF001E 0206433A
	v_cndmask_b32_e64 v34, v30, v32, s[34:35]                  // 000000008A08: D1000022 008A411E
	v_cmp_u_f32_e64 s[34:35], v59, v59                         // 000000008A10: D0480022 0002773B
	v_add3_u32 v30, v59, v33, 1                                // 000000008A18: D1FF001E 0206433B
	v_cndmask_b32_e64 v35, v30, v32, s[34:35]                  // 000000008A20: D1000023 008A411E
	v_perm_b32 v58, v35, v34, s52                              // 000000008A28: D1ED003A 00D24523
	v_cmp_u_f32_e64 s[34:35], v60, v60                         // 000000008A30: D0480022 0002793C
	v_add3_u32 v30, v60, v33, 1                                // 000000008A38: D1FF001E 0206433C
	v_cndmask_b32_e64 v34, v30, v32, s[34:35]                  // 000000008A40: D1000022 008A411E
	v_cmp_u_f32_e64 s[34:35], v61, v61                         // 000000008A48: D0480022 00027B3D
	v_add3_u32 v30, v61, v33, 1                                // 000000008A50: D1FF001E 0206433D
	v_cndmask_b32_e64 v35, v30, v32, s[34:35]                  // 000000008A58: D1000023 008A411E
	v_perm_b32 v59, v35, v34, s52                              // 000000008A60: D1ED003B 00D24523
	ds_write_b64 v43, v[58:59]                                 // 000000008A68: D89A0000 00003A2B
	v_mov_b32_e32 v58, v91                                     // 000000008A70: 7E74035B
	v_mov_b32_e32 v59, v95                                     // 000000008A74: 7E76035F
	v_mov_b32_e32 v60, v99                                     // 000000008A78: 7E780363
	v_mov_b32_e32 v61, v103                                    // 000000008A7C: 7E7A0367
	v_mul_f32_e32 v58, s43, v58                                // 000000008A80: 0A74742B
	v_mul_f32_e32 v59, s43, v59                                // 000000008A84: 0A76762B
	v_mul_f32_e32 v60, s43, v60                                // 000000008A88: 0A78782B
	v_mul_f32_e32 v61, s43, v61                                // 000000008A8C: 0A7A7A2B
	v_cmp_u_f32_e64 s[34:35], v58, v58                         // 000000008A90: D0480022 0002753A
	v_add3_u32 v30, v58, v33, 1                                // 000000008A98: D1FF001E 0206433A
	v_cndmask_b32_e64 v34, v30, v32, s[34:35]                  // 000000008AA0: D1000022 008A411E
	v_cmp_u_f32_e64 s[34:35], v59, v59                         // 000000008AA8: D0480022 0002773B
	v_add3_u32 v30, v59, v33, 1                                // 000000008AB0: D1FF001E 0206433B
	v_cndmask_b32_e64 v35, v30, v32, s[34:35]                  // 000000008AB8: D1000023 008A411E
	v_perm_b32 v58, v35, v34, s52                              // 000000008AC0: D1ED003A 00D24523
	v_cmp_u_f32_e64 s[34:35], v60, v60                         // 000000008AC8: D0480022 0002793C
	v_add3_u32 v30, v60, v33, 1                                // 000000008AD0: D1FF001E 0206433C
	v_cndmask_b32_e64 v34, v30, v32, s[34:35]                  // 000000008AD8: D1000022 008A411E
	v_cmp_u_f32_e64 s[34:35], v61, v61                         // 000000008AE0: D0480022 00027B3D
	v_add3_u32 v30, v61, v33, 1                                // 000000008AE8: D1FF001E 0206433D
	v_cndmask_b32_e64 v35, v30, v32, s[34:35]                  // 000000008AF0: D1000023 008A411E
	v_perm_b32 v59, v35, v34, s52                              // 000000008AF8: D1ED003B 00D24523
	ds_write_b64 v43, v[58:59] offset:520                      // 000000008B00: D89A0208 00003A2B
	v_mov_b32_e32 v58, v92                                     // 000000008B08: 7E74035C
	v_mov_b32_e32 v59, v96                                     // 000000008B0C: 7E760360
	v_mov_b32_e32 v60, v100                                    // 000000008B10: 7E780364
	v_mov_b32_e32 v61, v104                                    // 000000008B14: 7E7A0368
	v_mul_f32_e32 v58, s43, v58                                // 000000008B18: 0A74742B
	v_mul_f32_e32 v59, s43, v59                                // 000000008B1C: 0A76762B
	v_mul_f32_e32 v60, s43, v60                                // 000000008B20: 0A78782B
	v_mul_f32_e32 v61, s43, v61                                // 000000008B24: 0A7A7A2B
	v_cmp_u_f32_e64 s[34:35], v58, v58                         // 000000008B28: D0480022 0002753A
	v_add3_u32 v30, v58, v33, 1                                // 000000008B30: D1FF001E 0206433A
	v_cndmask_b32_e64 v34, v30, v32, s[34:35]                  // 000000008B38: D1000022 008A411E
	v_cmp_u_f32_e64 s[34:35], v59, v59                         // 000000008B40: D0480022 0002773B
	v_add3_u32 v30, v59, v33, 1                                // 000000008B48: D1FF001E 0206433B
	v_cndmask_b32_e64 v35, v30, v32, s[34:35]                  // 000000008B50: D1000023 008A411E
	v_perm_b32 v58, v35, v34, s52                              // 000000008B58: D1ED003A 00D24523
	v_cmp_u_f32_e64 s[34:35], v60, v60                         // 000000008B60: D0480022 0002793C
	v_add3_u32 v30, v60, v33, 1                                // 000000008B68: D1FF001E 0206433C
	v_cndmask_b32_e64 v34, v30, v32, s[34:35]                  // 000000008B70: D1000022 008A411E
	v_cmp_u_f32_e64 s[34:35], v61, v61                         // 000000008B78: D0480022 00027B3D
	v_add3_u32 v30, v61, v33, 1                                // 000000008B80: D1FF001E 0206433D
	v_cndmask_b32_e64 v35, v30, v32, s[34:35]                  // 000000008B88: D1000023 008A411E
	v_perm_b32 v59, v35, v34, s52                              // 000000008B90: D1ED003B 00D24523
	ds_write_b64 v43, v[58:59] offset:1040                     // 000000008B98: D89A0410 00003A2B
	v_mov_b32_e32 v58, v93                                     // 000000008BA0: 7E74035D
	v_mov_b32_e32 v59, v97                                     // 000000008BA4: 7E760361
	v_mov_b32_e32 v60, v101                                    // 000000008BA8: 7E780365
	v_mov_b32_e32 v61, v105                                    // 000000008BAC: 7E7A0369
	v_mul_f32_e32 v58, s43, v58                                // 000000008BB0: 0A74742B
	v_mul_f32_e32 v59, s43, v59                                // 000000008BB4: 0A76762B
	v_mul_f32_e32 v60, s43, v60                                // 000000008BB8: 0A78782B
	v_mul_f32_e32 v61, s43, v61                                // 000000008BBC: 0A7A7A2B
	v_cmp_u_f32_e64 s[34:35], v58, v58                         // 000000008BC0: D0480022 0002753A
	v_add3_u32 v30, v58, v33, 1                                // 000000008BC8: D1FF001E 0206433A
	v_cndmask_b32_e64 v34, v30, v32, s[34:35]                  // 000000008BD0: D1000022 008A411E
	v_cmp_u_f32_e64 s[34:35], v59, v59                         // 000000008BD8: D0480022 0002773B
	v_add3_u32 v30, v59, v33, 1                                // 000000008BE0: D1FF001E 0206433B
	v_cndmask_b32_e64 v35, v30, v32, s[34:35]                  // 000000008BE8: D1000023 008A411E
	v_perm_b32 v58, v35, v34, s52                              // 000000008BF0: D1ED003A 00D24523
	v_cmp_u_f32_e64 s[34:35], v60, v60                         // 000000008BF8: D0480022 0002793C
	v_add3_u32 v30, v60, v33, 1                                // 000000008C00: D1FF001E 0206433C
	v_cndmask_b32_e64 v34, v30, v32, s[34:35]                  // 000000008C08: D1000022 008A411E
	v_cmp_u_f32_e64 s[34:35], v61, v61                         // 000000008C10: D0480022 00027B3D
	v_add3_u32 v30, v61, v33, 1                                // 000000008C18: D1FF001E 0206433D
	v_cndmask_b32_e64 v35, v30, v32, s[34:35]                  // 000000008C20: D1000023 008A411E
	v_perm_b32 v59, v35, v34, s52                              // 000000008C28: D1ED003B 00D24523
	ds_write_b64 v43, v[58:59] offset:1560                     // 000000008C30: D89A0618 00003A2B
	v_mov_b32_e32 v58, v106                                    // 000000008C38: 7E74036A
	v_mov_b32_e32 v59, v110                                    // 000000008C3C: 7E76036E
	v_mov_b32_e32 v60, v114                                    // 000000008C40: 7E780372
	v_mov_b32_e32 v61, v118                                    // 000000008C44: 7E7A0376
	v_mul_f32_e32 v58, s43, v58                                // 000000008C48: 0A74742B
	v_mul_f32_e32 v59, s43, v59                                // 000000008C4C: 0A76762B
	v_mul_f32_e32 v60, s43, v60                                // 000000008C50: 0A78782B
	v_mul_f32_e32 v61, s43, v61                                // 000000008C54: 0A7A7A2B
	v_cmp_u_f32_e64 s[34:35], v58, v58                         // 000000008C58: D0480022 0002753A
	v_add3_u32 v30, v58, v33, 1                                // 000000008C60: D1FF001E 0206433A
	v_cndmask_b32_e64 v34, v30, v32, s[34:35]                  // 000000008C68: D1000022 008A411E
	v_cmp_u_f32_e64 s[34:35], v59, v59                         // 000000008C70: D0480022 0002773B
	v_add3_u32 v30, v59, v33, 1                                // 000000008C78: D1FF001E 0206433B
	v_cndmask_b32_e64 v35, v30, v32, s[34:35]                  // 000000008C80: D1000023 008A411E
	v_perm_b32 v58, v35, v34, s52                              // 000000008C88: D1ED003A 00D24523
	v_cmp_u_f32_e64 s[34:35], v60, v60                         // 000000008C90: D0480022 0002793C
	v_add3_u32 v30, v60, v33, 1                                // 000000008C98: D1FF001E 0206433C
	v_cndmask_b32_e64 v34, v30, v32, s[34:35]                  // 000000008CA0: D1000022 008A411E
	v_cmp_u_f32_e64 s[34:35], v61, v61                         // 000000008CA8: D0480022 00027B3D
	v_add3_u32 v30, v61, v33, 1                                // 000000008CB0: D1FF001E 0206433D
	v_cndmask_b32_e64 v35, v30, v32, s[34:35]                  // 000000008CB8: D1000023 008A411E
	v_perm_b32 v59, v35, v34, s52                              // 000000008CC0: D1ED003B 00D24523
	ds_write_b64 v43, v[58:59] offset:2080                     // 000000008CC8: D89A0820 00003A2B
	v_mov_b32_e32 v58, v107                                    // 000000008CD0: 7E74036B
	v_mov_b32_e32 v59, v111                                    // 000000008CD4: 7E76036F
	v_mov_b32_e32 v60, v115                                    // 000000008CD8: 7E780373
	v_mov_b32_e32 v61, v119                                    // 000000008CDC: 7E7A0377
	v_mul_f32_e32 v58, s43, v58                                // 000000008CE0: 0A74742B
	v_mul_f32_e32 v59, s43, v59                                // 000000008CE4: 0A76762B
	v_mul_f32_e32 v60, s43, v60                                // 000000008CE8: 0A78782B
	v_mul_f32_e32 v61, s43, v61                                // 000000008CEC: 0A7A7A2B
	v_cmp_u_f32_e64 s[34:35], v58, v58                         // 000000008CF0: D0480022 0002753A
	v_add3_u32 v30, v58, v33, 1                                // 000000008CF8: D1FF001E 0206433A
	v_cndmask_b32_e64 v34, v30, v32, s[34:35]                  // 000000008D00: D1000022 008A411E
	v_cmp_u_f32_e64 s[34:35], v59, v59                         // 000000008D08: D0480022 0002773B
	v_add3_u32 v30, v59, v33, 1                                // 000000008D10: D1FF001E 0206433B
	v_cndmask_b32_e64 v35, v30, v32, s[34:35]                  // 000000008D18: D1000023 008A411E
	v_perm_b32 v58, v35, v34, s52                              // 000000008D20: D1ED003A 00D24523
	v_cmp_u_f32_e64 s[34:35], v60, v60                         // 000000008D28: D0480022 0002793C
	v_add3_u32 v30, v60, v33, 1                                // 000000008D30: D1FF001E 0206433C
	v_cndmask_b32_e64 v34, v30, v32, s[34:35]                  // 000000008D38: D1000022 008A411E
	v_cmp_u_f32_e64 s[34:35], v61, v61                         // 000000008D40: D0480022 00027B3D
	v_add3_u32 v30, v61, v33, 1                                // 000000008D48: D1FF001E 0206433D
	v_cndmask_b32_e64 v35, v30, v32, s[34:35]                  // 000000008D50: D1000023 008A411E
	v_perm_b32 v59, v35, v34, s52                              // 000000008D58: D1ED003B 00D24523
	ds_write_b64 v43, v[58:59] offset:2600                     // 000000008D60: D89A0A28 00003A2B
	v_mov_b32_e32 v58, v108                                    // 000000008D68: 7E74036C
	v_mov_b32_e32 v59, v112                                    // 000000008D6C: 7E760370
	v_mov_b32_e32 v60, v116                                    // 000000008D70: 7E780374
	v_mov_b32_e32 v61, v120                                    // 000000008D74: 7E7A0378
	v_mul_f32_e32 v58, s43, v58                                // 000000008D78: 0A74742B
	v_mul_f32_e32 v59, s43, v59                                // 000000008D7C: 0A76762B
	v_mul_f32_e32 v60, s43, v60                                // 000000008D80: 0A78782B
	v_mul_f32_e32 v61, s43, v61                                // 000000008D84: 0A7A7A2B
	v_cmp_u_f32_e64 s[34:35], v58, v58                         // 000000008D88: D0480022 0002753A
	v_add3_u32 v30, v58, v33, 1                                // 000000008D90: D1FF001E 0206433A
	v_cndmask_b32_e64 v34, v30, v32, s[34:35]                  // 000000008D98: D1000022 008A411E
	v_cmp_u_f32_e64 s[34:35], v59, v59                         // 000000008DA0: D0480022 0002773B
	v_add3_u32 v30, v59, v33, 1                                // 000000008DA8: D1FF001E 0206433B
	v_cndmask_b32_e64 v35, v30, v32, s[34:35]                  // 000000008DB0: D1000023 008A411E
	v_perm_b32 v58, v35, v34, s52                              // 000000008DB8: D1ED003A 00D24523
	v_cmp_u_f32_e64 s[34:35], v60, v60                         // 000000008DC0: D0480022 0002793C
	v_add3_u32 v30, v60, v33, 1                                // 000000008DC8: D1FF001E 0206433C
	v_cndmask_b32_e64 v34, v30, v32, s[34:35]                  // 000000008DD0: D1000022 008A411E
	v_cmp_u_f32_e64 s[34:35], v61, v61                         // 000000008DD8: D0480022 00027B3D
	v_add3_u32 v30, v61, v33, 1                                // 000000008DE0: D1FF001E 0206433D
	v_cndmask_b32_e64 v35, v30, v32, s[34:35]                  // 000000008DE8: D1000023 008A411E
	v_perm_b32 v59, v35, v34, s52                              // 000000008DF0: D1ED003B 00D24523
	ds_write_b64 v43, v[58:59] offset:3120                     // 000000008DF8: D89A0C30 00003A2B
	v_mov_b32_e32 v58, v109                                    // 000000008E00: 7E74036D
	v_mov_b32_e32 v59, v113                                    // 000000008E04: 7E760371
	v_mov_b32_e32 v60, v117                                    // 000000008E08: 7E780375
	v_mov_b32_e32 v61, v121                                    // 000000008E0C: 7E7A0379
	v_mul_f32_e32 v58, s43, v58                                // 000000008E10: 0A74742B
	v_mul_f32_e32 v59, s43, v59                                // 000000008E14: 0A76762B
	v_mul_f32_e32 v60, s43, v60                                // 000000008E18: 0A78782B
	v_mul_f32_e32 v61, s43, v61                                // 000000008E1C: 0A7A7A2B
	v_cmp_u_f32_e64 s[34:35], v58, v58                         // 000000008E20: D0480022 0002753A
	v_add3_u32 v30, v58, v33, 1                                // 000000008E28: D1FF001E 0206433A
	v_cndmask_b32_e64 v34, v30, v32, s[34:35]                  // 000000008E30: D1000022 008A411E
	v_cmp_u_f32_e64 s[34:35], v59, v59                         // 000000008E38: D0480022 0002773B
	v_add3_u32 v30, v59, v33, 1                                // 000000008E40: D1FF001E 0206433B
	v_cndmask_b32_e64 v35, v30, v32, s[34:35]                  // 000000008E48: D1000023 008A411E
	v_perm_b32 v58, v35, v34, s52                              // 000000008E50: D1ED003A 00D24523
	v_cmp_u_f32_e64 s[34:35], v60, v60                         // 000000008E58: D0480022 0002793C
	v_add3_u32 v30, v60, v33, 1                                // 000000008E60: D1FF001E 0206433C
	v_cndmask_b32_e64 v34, v30, v32, s[34:35]                  // 000000008E68: D1000022 008A411E
	v_cmp_u_f32_e64 s[34:35], v61, v61                         // 000000008E70: D0480022 00027B3D
	v_add3_u32 v30, v61, v33, 1                                // 000000008E78: D1FF001E 0206433D
	v_cndmask_b32_e64 v35, v30, v32, s[34:35]                  // 000000008E80: D1000023 008A411E
	v_perm_b32 v59, v35, v34, s52                              // 000000008E88: D1ED003B 00D24523
	ds_write_b64 v43, v[58:59] offset:3640                     // 000000008E90: D89A0E38 00003A2B
	v_mov_b32_e32 v34, 0                                       // 000000008E98: 7E440280
	v_mov_b32_e32 v35, 4                                       // 000000008E9C: 7E460284
	s_mov_b32 s56, 0xffff0000                                  // 000000008EA0: BEB800FF FFFF0000
	s_mov_b32 s57, 0xffff0000                                  // 000000008EA8: BEB900FF FFFF0000
	v_cndmask_b32_e64 v36, v34, v35, s[56:57]                  // 000000008EB0: D1000024 00E24722
	v_and_b32_e32 v34, 3, v0                                   // 000000008EB8: 26440083
	v_add_u32_e32 v34, v34, v36                                // 000000008EBC: 68444922
	s_mov_b32 s56, 0x82                                        // 000000008EC0: BEB800FF 00000082
	v_mul_i32_i24_e32 v34, s56, v34                            // 000000008EC8: 0C444438
	v_and_b32_e32 v35, 15, v0                                  // 000000008ECC: 2646008F
	v_lshrrev_b32_e32 v35, 2, v35                              // 000000008ED0: 20464682
	s_mov_b32 s56, 32                                          // 000000008ED4: BEB800A0
	v_mul_i32_i24_e32 v35, s56, v35                            // 000000008ED8: 0C464638
	v_lshrrev_b32_e32 v36, 5, v0                               // 000000008EDC: 20480085
	v_lshlrev_b32_e32 v36, 1, v36                              // 000000008EE0: 24484881
	v_add_u32_e32 v43, v34, v35                                // 000000008EE4: 68564722
	v_add_u32_e32 v43, v43, v36                                // 000000008EE8: 6856492B
	s_mul_i32 s56, s7, 0x410                                   // 000000008EEC: 9238FF07 00000410
	v_add_u32_e32 v43, s56, v43                                // 000000008EF4: 68565638
	v_lshlrev_b32_e32 v43, 2, v43                              // 000000008EF8: 24565682
	s_waitcnt lgkmcnt(0)                                       // 000000008EFC: BF8CC07F
	ds_read_b64 v[90:91], v43                                  // 000000008F00: D8EC0000 5A00002B
	ds_read_b64 v[92:93], v43 offset:16                        // 000000008F08: D8EC0010 5C00002B
	ds_read_b64 v[94:95], v43 offset:32                        // 000000008F10: D8EC0020 5E00002B
	ds_read_b64 v[96:97], v43 offset:48                        // 000000008F18: D8EC0030 6000002B
	ds_read_b64 v[98:99], v43 offset:64                        // 000000008F20: D8EC0040 6200002B
	ds_read_b64 v[100:101], v43 offset:80                      // 000000008F28: D8EC0050 6400002B
	ds_read_b64 v[102:103], v43 offset:96                      // 000000008F30: D8EC0060 6600002B
	ds_read_b64 v[104:105], v43 offset:112                     // 000000008F38: D8EC0070 6800002B
	s_mul_i32 s75, 0x400, 16                                   // 000000008F40: 924B90FF 00000400
	s_mul_i32 s56, s78, s75                                    // 000000008F48: 92384B4E
	s_add_u32 s88, s56, s88                                    // 000000008F4C: 80585838
	s_addc_u32 s89, 0, s89                                     // 000000008F50: 82595980
	s_mul_i32 s56, s81, s75                                    // 000000008F54: 92384B51
	s_mov_b32 s90, s56                                         // 000000008F58: BEDA0038
	s_mul_i32 s56, s7, 0x100                                   // 000000008F5C: 9238FF07 00000100
	v_lshrrev_b32_e32 v34, 5, v0                               // 000000008F64: 20440085
	s_mov_b32 s57, 0x400                                       // 000000008F68: BEB900FF 00000400
	v_mul_i32_i24_e32 v34, s57, v34                            // 000000008F70: 0C444439
	v_and_b32_e32 v19, 31, v0                                  // 000000008F74: 2626009F
	v_lshlrev_b32_e32 v19, 3, v19                              // 000000008F78: 24262683
	v_add_u32_e32 v19, v19, v34                                // 000000008F7C: 68264513
	v_add_u32_e64 v19, v19, s56                                // 000000008F80: D1340013 00007113
	v_mov_b32_e32 v51, v19                                     // 000000008F88: 7E660313
	v_mov_b32_e32 v19, v51                                     // 000000008F8C: 7E260333
	s_waitcnt lgkmcnt(7)                                       // 000000008F90: BF8CC77F
	buffer_store_dwordx2 v[90:91], v19, s[88:91], 0 offen      // 000000008F94: E0741000 80165A13
	v_add_u32_e32 v19, 0x800, v19                              // 000000008F9C: 682626FF 00000800
	s_waitcnt lgkmcnt(6)                                       // 000000008FA4: BF8CC67F
	buffer_store_dwordx2 v[92:93], v19, s[88:91], 0 offen      // 000000008FA8: E0741000 80165C13
	v_add_u32_e32 v19, 0x800, v19                              // 000000008FB0: 682626FF 00000800
	s_waitcnt lgkmcnt(5)                                       // 000000008FB8: BF8CC57F
	buffer_store_dwordx2 v[94:95], v19, s[88:91], 0 offen      // 000000008FBC: E0741000 80165E13
	v_add_u32_e32 v19, 0x800, v19                              // 000000008FC4: 682626FF 00000800
	s_waitcnt lgkmcnt(4)                                       // 000000008FCC: BF8CC47F
	buffer_store_dwordx2 v[96:97], v19, s[88:91], 0 offen      // 000000008FD0: E0741000 80166013
	v_add_u32_e32 v19, 0x800, v19                              // 000000008FD8: 682626FF 00000800
	s_waitcnt lgkmcnt(3)                                       // 000000008FE0: BF8CC37F
	buffer_store_dwordx2 v[98:99], v19, s[88:91], 0 offen      // 000000008FE4: E0741000 80166213
	v_add_u32_e32 v19, 0x800, v19                              // 000000008FEC: 682626FF 00000800
	s_waitcnt lgkmcnt(2)                                       // 000000008FF4: BF8CC27F
	buffer_store_dwordx2 v[100:101], v19, s[88:91], 0 offen    // 000000008FF8: E0741000 80166413
	v_add_u32_e32 v19, 0x800, v19                              // 000000009000: 682626FF 00000800
	s_waitcnt lgkmcnt(1)                                       // 000000009008: BF8CC17F
	buffer_store_dwordx2 v[102:103], v19, s[88:91], 0 offen    // 00000000900C: E0741000 80166613
	v_add_u32_e32 v19, 0x800, v19                              // 000000009014: 682626FF 00000800
	s_waitcnt lgkmcnt(0)                                       // 00000000901C: BF8CC07F
	buffer_store_dwordx2 v[104:105], v19, s[88:91], 0 offen    // 000000009020: E0741000 80166813
	v_add_u32_e32 v19, 0x800, v19                              // 000000009028: 682626FF 00000800
	s_mov_b32 s56, s75                                         // 000000009030: BEB8004B
	s_add_u32 s88, s56, s88                                    // 000000009034: 80585838
	s_addc_u32 s89, 0, s89                                     // 000000009038: 82595980
	ds_write_b32 v5, v16 offset:21120                          // 00000000903C: D81A5280 00001005
	s_waitcnt lgkmcnt(0)                                       // 000000009044: BF8CC07F
	s_barrier                                                  // 000000009048: BF8A0000
	ds_read_b32 v58, v4 offset:21120                           // 00000000904C: D86C5280 3A000004
	ds_read_b32 v59, v4 offset:21184                           // 000000009054: D86C52C0 3B000004
	ds_read_b32 v60, v4 offset:21248                           // 00000000905C: D86C5300 3C000004
	ds_read_b32 v61, v4 offset:21312                           // 000000009064: D86C5340 3D000004
	ds_read_b32 v62, v4 offset:21376                           // 00000000906C: D86C5380 3E000004
	ds_read_b32 v63, v4 offset:21440                           // 000000009074: D86C53C0 3F000004
	ds_read_b32 v64, v4 offset:21504                           // 00000000907C: D86C5400 40000004
	ds_read_b32 v65, v4 offset:21568                           // 000000009084: D86C5440 41000004
	ds_read_b32 v66, v4 offset:21632                           // 00000000908C: D86C5480 42000004
	ds_read_b32 v67, v4 offset:21696                           // 000000009094: D86C54C0 43000004
	ds_read_b32 v68, v4 offset:21760                           // 00000000909C: D86C5500 44000004
	ds_read_b32 v69, v4 offset:21824                           // 0000000090A4: D86C5540 45000004
	ds_read_b32 v70, v4 offset:21888                           // 0000000090AC: D86C5580 46000004
	ds_read_b32 v71, v4 offset:21952                           // 0000000090B4: D86C55C0 47000004
	ds_read_b32 v72, v4 offset:22016                           // 0000000090BC: D86C5600 48000004
	ds_read_b32 v73, v4 offset:22080                           // 0000000090C4: D86C5640 49000004
	s_waitcnt lgkmcnt(0)                                       // 0000000090CC: BF8CC07F
	v_mov_b32_e32 v16, 0                                       // 0000000090D0: 7E200280
	v_add_f32_e32 v16, v58, v16                                // 0000000090D4: 0220213A
	v_add_f32_e32 v16, v59, v16                                // 0000000090D8: 0220213B
	v_add_f32_e32 v16, v60, v16                                // 0000000090DC: 0220213C
	v_add_f32_e32 v16, v61, v16                                // 0000000090E0: 0220213D
	v_add_f32_e32 v16, v62, v16                                // 0000000090E4: 0220213E
	v_add_f32_e32 v16, v63, v16                                // 0000000090E8: 0220213F
	v_add_f32_e32 v16, v64, v16                                // 0000000090EC: 02202140
	v_add_f32_e32 v16, v65, v16                                // 0000000090F0: 02202141
	v_add_f32_e32 v16, v66, v16                                // 0000000090F4: 02202142
	v_add_f32_e32 v16, v67, v16                                // 0000000090F8: 02202143
	v_add_f32_e32 v16, v68, v16                                // 0000000090FC: 02202144
	v_add_f32_e32 v16, v69, v16                                // 000000009100: 02202145
	v_add_f32_e32 v16, v70, v16                                // 000000009104: 02202146
	;; [unrolled: 1-line block ×3, first 2 shown]
	v_add_f32_e32 v16, v72, v16                                // 00000000910C: 02202148
	v_add_f32_e32 v16, v73, v16                                // 000000009110: 02202149
	v_mul_f32_e64 v34, v13, s64                                // 000000009114: D1050022 0000810D
	v_log_f32_e32 v35, v16                                     // 00000000911C: 7E464310
	s_nop 1                                                    // 000000009120: BF800001
	v_rcp_f32_e32 v16, v16                                     // 000000009124: 7E204510
	s_nop 1                                                    // 000000009128: BF800001
	v_fma_f32 v45, v35, s63, v34                               // 00000000912C: D1CB002D 04887F23
	v_mul_f32_e32 v122, v16, v122                              // 000000009134: 0AF4F510
	v_mul_f32_e32 v123, v16, v123                              // 000000009138: 0AF6F710
	v_mul_f32_e32 v124, v16, v124                              // 00000000913C: 0AF8F910
	v_mul_f32_e32 v125, v16, v125                              // 000000009140: 0AFAFB10
	v_mul_f32_e32 v126, v16, v126                              // 000000009144: 0AFCFD10
	v_mul_f32_e32 v127, v16, v127                              // 000000009148: 0AFEFF10
	v_mul_f32_e32 v128, v16, v128                              // 00000000914C: 0B010110
	v_mul_f32_e32 v129, v16, v129                              // 000000009150: 0B030310
	v_mul_f32_e32 v130, v16, v130                              // 000000009154: 0B050510
	v_mul_f32_e32 v131, v16, v131                              // 000000009158: 0B070710
	v_mul_f32_e32 v132, v16, v132                              // 00000000915C: 0B090910
	v_mul_f32_e32 v133, v16, v133                              // 000000009160: 0B0B0B10
	v_mul_f32_e32 v134, v16, v134                              // 000000009164: 0B0D0D10
	v_mul_f32_e32 v135, v16, v135                              // 000000009168: 0B0F0F10
	v_mul_f32_e32 v136, v16, v136                              // 00000000916C: 0B111110
	v_mul_f32_e32 v137, v16, v137                              // 000000009170: 0B131310
	v_mul_f32_e32 v138, v16, v138                              // 000000009174: 0B151510
	v_mul_f32_e32 v139, v16, v139                              // 000000009178: 0B171710
	v_mul_f32_e32 v140, v16, v140                              // 00000000917C: 0B191910
	v_mul_f32_e32 v141, v16, v141                              // 000000009180: 0B1B1B10
	v_mul_f32_e32 v142, v16, v142                              // 000000009184: 0B1D1D10
	v_mul_f32_e32 v143, v16, v143                              // 000000009188: 0B1F1F10
	v_mul_f32_e32 v144, v16, v144                              // 00000000918C: 0B212110
	v_mul_f32_e32 v145, v16, v145                              // 000000009190: 0B232310
	v_mul_f32_e32 v146, v16, v146                              // 000000009194: 0B252510
	v_mul_f32_e32 v147, v16, v147                              // 000000009198: 0B272710
	v_mul_f32_e32 v148, v16, v148                              // 00000000919C: 0B292910
	v_mul_f32_e32 v149, v16, v149                              // 0000000091A0: 0B2B2B10
	v_mul_f32_e32 v150, v16, v150                              // 0000000091A4: 0B2D2D10
	v_mul_f32_e32 v151, v16, v151                              // 0000000091A8: 0B2F2F10
	v_mul_f32_e32 v152, v16, v152                              // 0000000091AC: 0B313110
	v_mul_f32_e32 v153, v16, v153                              // 0000000091B0: 0B333310
	s_waitcnt lgkmcnt(0)                                       // 0000000091B4: BF8CC07F
	s_barrier                                                  // 0000000091B8: BF8A0000
	v_lshlrev_b32_e32 v43, 1, v0                               // 0000000091BC: 24560081
	s_mul_i32 s56, s7, 0x410                                   // 0000000091C0: 9238FF07 00000410
	v_add_u32_e32 v43, s56, v43                                // 0000000091C8: 68565638
	v_lshlrev_b32_e32 v43, 2, v43                              // 0000000091CC: 24565682
	v_mov_b32_e32 v58, v122                                    // 0000000091D0: 7E74037A
	v_mov_b32_e32 v59, v126                                    // 0000000091D4: 7E76037E
	v_mov_b32_e32 v60, v130                                    // 0000000091D8: 7E780382
	v_mov_b32_e32 v61, v134                                    // 0000000091DC: 7E7A0386
	v_mul_f32_e32 v58, s43, v58                                // 0000000091E0: 0A74742B
	v_mul_f32_e32 v59, s43, v59                                // 0000000091E4: 0A76762B
	v_mul_f32_e32 v60, s43, v60                                // 0000000091E8: 0A78782B
	v_mul_f32_e32 v61, s43, v61                                // 0000000091EC: 0A7A7A2B
	v_cmp_u_f32_e64 s[34:35], v58, v58                         // 0000000091F0: D0480022 0002753A
	v_add3_u32 v30, v58, v33, 1                                // 0000000091F8: D1FF001E 0206433A
	v_cndmask_b32_e64 v34, v30, v32, s[34:35]                  // 000000009200: D1000022 008A411E
	v_cmp_u_f32_e64 s[34:35], v59, v59                         // 000000009208: D0480022 0002773B
	v_add3_u32 v30, v59, v33, 1                                // 000000009210: D1FF001E 0206433B
	v_cndmask_b32_e64 v35, v30, v32, s[34:35]                  // 000000009218: D1000023 008A411E
	v_perm_b32 v58, v35, v34, s52                              // 000000009220: D1ED003A 00D24523
	v_cmp_u_f32_e64 s[34:35], v60, v60                         // 000000009228: D0480022 0002793C
	v_add3_u32 v30, v60, v33, 1                                // 000000009230: D1FF001E 0206433C
	v_cndmask_b32_e64 v34, v30, v32, s[34:35]                  // 000000009238: D1000022 008A411E
	v_cmp_u_f32_e64 s[34:35], v61, v61                         // 000000009240: D0480022 00027B3D
	v_add3_u32 v30, v61, v33, 1                                // 000000009248: D1FF001E 0206433D
	v_cndmask_b32_e64 v35, v30, v32, s[34:35]                  // 000000009250: D1000023 008A411E
	v_perm_b32 v59, v35, v34, s52                              // 000000009258: D1ED003B 00D24523
	ds_write_b64 v43, v[58:59]                                 // 000000009260: D89A0000 00003A2B
	v_mov_b32_e32 v58, v123                                    // 000000009268: 7E74037B
	v_mov_b32_e32 v59, v127                                    // 00000000926C: 7E76037F
	v_mov_b32_e32 v60, v131                                    // 000000009270: 7E780383
	v_mov_b32_e32 v61, v135                                    // 000000009274: 7E7A0387
	v_mul_f32_e32 v58, s43, v58                                // 000000009278: 0A74742B
	v_mul_f32_e32 v59, s43, v59                                // 00000000927C: 0A76762B
	v_mul_f32_e32 v60, s43, v60                                // 000000009280: 0A78782B
	v_mul_f32_e32 v61, s43, v61                                // 000000009284: 0A7A7A2B
	v_cmp_u_f32_e64 s[34:35], v58, v58                         // 000000009288: D0480022 0002753A
	v_add3_u32 v30, v58, v33, 1                                // 000000009290: D1FF001E 0206433A
	v_cndmask_b32_e64 v34, v30, v32, s[34:35]                  // 000000009298: D1000022 008A411E
	v_cmp_u_f32_e64 s[34:35], v59, v59                         // 0000000092A0: D0480022 0002773B
	v_add3_u32 v30, v59, v33, 1                                // 0000000092A8: D1FF001E 0206433B
	v_cndmask_b32_e64 v35, v30, v32, s[34:35]                  // 0000000092B0: D1000023 008A411E
	v_perm_b32 v58, v35, v34, s52                              // 0000000092B8: D1ED003A 00D24523
	v_cmp_u_f32_e64 s[34:35], v60, v60                         // 0000000092C0: D0480022 0002793C
	v_add3_u32 v30, v60, v33, 1                                // 0000000092C8: D1FF001E 0206433C
	v_cndmask_b32_e64 v34, v30, v32, s[34:35]                  // 0000000092D0: D1000022 008A411E
	v_cmp_u_f32_e64 s[34:35], v61, v61                         // 0000000092D8: D0480022 00027B3D
	v_add3_u32 v30, v61, v33, 1                                // 0000000092E0: D1FF001E 0206433D
	v_cndmask_b32_e64 v35, v30, v32, s[34:35]                  // 0000000092E8: D1000023 008A411E
	v_perm_b32 v59, v35, v34, s52                              // 0000000092F0: D1ED003B 00D24523
	ds_write_b64 v43, v[58:59] offset:520                      // 0000000092F8: D89A0208 00003A2B
	v_mov_b32_e32 v58, v124                                    // 000000009300: 7E74037C
	v_mov_b32_e32 v59, v128                                    // 000000009304: 7E760380
	v_mov_b32_e32 v60, v132                                    // 000000009308: 7E780384
	v_mov_b32_e32 v61, v136                                    // 00000000930C: 7E7A0388
	v_mul_f32_e32 v58, s43, v58                                // 000000009310: 0A74742B
	v_mul_f32_e32 v59, s43, v59                                // 000000009314: 0A76762B
	v_mul_f32_e32 v60, s43, v60                                // 000000009318: 0A78782B
	v_mul_f32_e32 v61, s43, v61                                // 00000000931C: 0A7A7A2B
	v_cmp_u_f32_e64 s[34:35], v58, v58                         // 000000009320: D0480022 0002753A
	v_add3_u32 v30, v58, v33, 1                                // 000000009328: D1FF001E 0206433A
	v_cndmask_b32_e64 v34, v30, v32, s[34:35]                  // 000000009330: D1000022 008A411E
	v_cmp_u_f32_e64 s[34:35], v59, v59                         // 000000009338: D0480022 0002773B
	v_add3_u32 v30, v59, v33, 1                                // 000000009340: D1FF001E 0206433B
	v_cndmask_b32_e64 v35, v30, v32, s[34:35]                  // 000000009348: D1000023 008A411E
	v_perm_b32 v58, v35, v34, s52                              // 000000009350: D1ED003A 00D24523
	v_cmp_u_f32_e64 s[34:35], v60, v60                         // 000000009358: D0480022 0002793C
	v_add3_u32 v30, v60, v33, 1                                // 000000009360: D1FF001E 0206433C
	v_cndmask_b32_e64 v34, v30, v32, s[34:35]                  // 000000009368: D1000022 008A411E
	v_cmp_u_f32_e64 s[34:35], v61, v61                         // 000000009370: D0480022 00027B3D
	v_add3_u32 v30, v61, v33, 1                                // 000000009378: D1FF001E 0206433D
	v_cndmask_b32_e64 v35, v30, v32, s[34:35]                  // 000000009380: D1000023 008A411E
	v_perm_b32 v59, v35, v34, s52                              // 000000009388: D1ED003B 00D24523
	ds_write_b64 v43, v[58:59] offset:1040                     // 000000009390: D89A0410 00003A2B
	v_mov_b32_e32 v58, v125                                    // 000000009398: 7E74037D
	v_mov_b32_e32 v59, v129                                    // 00000000939C: 7E760381
	v_mov_b32_e32 v60, v133                                    // 0000000093A0: 7E780385
	v_mov_b32_e32 v61, v137                                    // 0000000093A4: 7E7A0389
	v_mul_f32_e32 v58, s43, v58                                // 0000000093A8: 0A74742B
	v_mul_f32_e32 v59, s43, v59                                // 0000000093AC: 0A76762B
	v_mul_f32_e32 v60, s43, v60                                // 0000000093B0: 0A78782B
	v_mul_f32_e32 v61, s43, v61                                // 0000000093B4: 0A7A7A2B
	v_cmp_u_f32_e64 s[34:35], v58, v58                         // 0000000093B8: D0480022 0002753A
	v_add3_u32 v30, v58, v33, 1                                // 0000000093C0: D1FF001E 0206433A
	v_cndmask_b32_e64 v34, v30, v32, s[34:35]                  // 0000000093C8: D1000022 008A411E
	v_cmp_u_f32_e64 s[34:35], v59, v59                         // 0000000093D0: D0480022 0002773B
	v_add3_u32 v30, v59, v33, 1                                // 0000000093D8: D1FF001E 0206433B
	v_cndmask_b32_e64 v35, v30, v32, s[34:35]                  // 0000000093E0: D1000023 008A411E
	v_perm_b32 v58, v35, v34, s52                              // 0000000093E8: D1ED003A 00D24523
	v_cmp_u_f32_e64 s[34:35], v60, v60                         // 0000000093F0: D0480022 0002793C
	v_add3_u32 v30, v60, v33, 1                                // 0000000093F8: D1FF001E 0206433C
	v_cndmask_b32_e64 v34, v30, v32, s[34:35]                  // 000000009400: D1000022 008A411E
	v_cmp_u_f32_e64 s[34:35], v61, v61                         // 000000009408: D0480022 00027B3D
	v_add3_u32 v30, v61, v33, 1                                // 000000009410: D1FF001E 0206433D
	v_cndmask_b32_e64 v35, v30, v32, s[34:35]                  // 000000009418: D1000023 008A411E
	v_perm_b32 v59, v35, v34, s52                              // 000000009420: D1ED003B 00D24523
	ds_write_b64 v43, v[58:59] offset:1560                     // 000000009428: D89A0618 00003A2B
	v_mov_b32_e32 v58, v138                                    // 000000009430: 7E74038A
	v_mov_b32_e32 v59, v142                                    // 000000009434: 7E76038E
	v_mov_b32_e32 v60, v146                                    // 000000009438: 7E780392
	v_mov_b32_e32 v61, v150                                    // 00000000943C: 7E7A0396
	v_mul_f32_e32 v58, s43, v58                                // 000000009440: 0A74742B
	v_mul_f32_e32 v59, s43, v59                                // 000000009444: 0A76762B
	v_mul_f32_e32 v60, s43, v60                                // 000000009448: 0A78782B
	v_mul_f32_e32 v61, s43, v61                                // 00000000944C: 0A7A7A2B
	v_cmp_u_f32_e64 s[34:35], v58, v58                         // 000000009450: D0480022 0002753A
	v_add3_u32 v30, v58, v33, 1                                // 000000009458: D1FF001E 0206433A
	v_cndmask_b32_e64 v34, v30, v32, s[34:35]                  // 000000009460: D1000022 008A411E
	v_cmp_u_f32_e64 s[34:35], v59, v59                         // 000000009468: D0480022 0002773B
	v_add3_u32 v30, v59, v33, 1                                // 000000009470: D1FF001E 0206433B
	v_cndmask_b32_e64 v35, v30, v32, s[34:35]                  // 000000009478: D1000023 008A411E
	v_perm_b32 v58, v35, v34, s52                              // 000000009480: D1ED003A 00D24523
	v_cmp_u_f32_e64 s[34:35], v60, v60                         // 000000009488: D0480022 0002793C
	v_add3_u32 v30, v60, v33, 1                                // 000000009490: D1FF001E 0206433C
	v_cndmask_b32_e64 v34, v30, v32, s[34:35]                  // 000000009498: D1000022 008A411E
	v_cmp_u_f32_e64 s[34:35], v61, v61                         // 0000000094A0: D0480022 00027B3D
	v_add3_u32 v30, v61, v33, 1                                // 0000000094A8: D1FF001E 0206433D
	v_cndmask_b32_e64 v35, v30, v32, s[34:35]                  // 0000000094B0: D1000023 008A411E
	v_perm_b32 v59, v35, v34, s52                              // 0000000094B8: D1ED003B 00D24523
	ds_write_b64 v43, v[58:59] offset:2080                     // 0000000094C0: D89A0820 00003A2B
	v_mov_b32_e32 v58, v139                                    // 0000000094C8: 7E74038B
	v_mov_b32_e32 v59, v143                                    // 0000000094CC: 7E76038F
	v_mov_b32_e32 v60, v147                                    // 0000000094D0: 7E780393
	v_mov_b32_e32 v61, v151                                    // 0000000094D4: 7E7A0397
	v_mul_f32_e32 v58, s43, v58                                // 0000000094D8: 0A74742B
	v_mul_f32_e32 v59, s43, v59                                // 0000000094DC: 0A76762B
	v_mul_f32_e32 v60, s43, v60                                // 0000000094E0: 0A78782B
	v_mul_f32_e32 v61, s43, v61                                // 0000000094E4: 0A7A7A2B
	v_cmp_u_f32_e64 s[34:35], v58, v58                         // 0000000094E8: D0480022 0002753A
	v_add3_u32 v30, v58, v33, 1                                // 0000000094F0: D1FF001E 0206433A
	v_cndmask_b32_e64 v34, v30, v32, s[34:35]                  // 0000000094F8: D1000022 008A411E
	v_cmp_u_f32_e64 s[34:35], v59, v59                         // 000000009500: D0480022 0002773B
	v_add3_u32 v30, v59, v33, 1                                // 000000009508: D1FF001E 0206433B
	v_cndmask_b32_e64 v35, v30, v32, s[34:35]                  // 000000009510: D1000023 008A411E
	v_perm_b32 v58, v35, v34, s52                              // 000000009518: D1ED003A 00D24523
	v_cmp_u_f32_e64 s[34:35], v60, v60                         // 000000009520: D0480022 0002793C
	v_add3_u32 v30, v60, v33, 1                                // 000000009528: D1FF001E 0206433C
	v_cndmask_b32_e64 v34, v30, v32, s[34:35]                  // 000000009530: D1000022 008A411E
	v_cmp_u_f32_e64 s[34:35], v61, v61                         // 000000009538: D0480022 00027B3D
	v_add3_u32 v30, v61, v33, 1                                // 000000009540: D1FF001E 0206433D
	v_cndmask_b32_e64 v35, v30, v32, s[34:35]                  // 000000009548: D1000023 008A411E
	v_perm_b32 v59, v35, v34, s52                              // 000000009550: D1ED003B 00D24523
	ds_write_b64 v43, v[58:59] offset:2600                     // 000000009558: D89A0A28 00003A2B
	v_mov_b32_e32 v58, v140                                    // 000000009560: 7E74038C
	v_mov_b32_e32 v59, v144                                    // 000000009564: 7E760390
	v_mov_b32_e32 v60, v148                                    // 000000009568: 7E780394
	v_mov_b32_e32 v61, v152                                    // 00000000956C: 7E7A0398
	v_mul_f32_e32 v58, s43, v58                                // 000000009570: 0A74742B
	v_mul_f32_e32 v59, s43, v59                                // 000000009574: 0A76762B
	v_mul_f32_e32 v60, s43, v60                                // 000000009578: 0A78782B
	v_mul_f32_e32 v61, s43, v61                                // 00000000957C: 0A7A7A2B
	v_cmp_u_f32_e64 s[34:35], v58, v58                         // 000000009580: D0480022 0002753A
	v_add3_u32 v30, v58, v33, 1                                // 000000009588: D1FF001E 0206433A
	v_cndmask_b32_e64 v34, v30, v32, s[34:35]                  // 000000009590: D1000022 008A411E
	v_cmp_u_f32_e64 s[34:35], v59, v59                         // 000000009598: D0480022 0002773B
	v_add3_u32 v30, v59, v33, 1                                // 0000000095A0: D1FF001E 0206433B
	v_cndmask_b32_e64 v35, v30, v32, s[34:35]                  // 0000000095A8: D1000023 008A411E
	v_perm_b32 v58, v35, v34, s52                              // 0000000095B0: D1ED003A 00D24523
	v_cmp_u_f32_e64 s[34:35], v60, v60                         // 0000000095B8: D0480022 0002793C
	v_add3_u32 v30, v60, v33, 1                                // 0000000095C0: D1FF001E 0206433C
	v_cndmask_b32_e64 v34, v30, v32, s[34:35]                  // 0000000095C8: D1000022 008A411E
	v_cmp_u_f32_e64 s[34:35], v61, v61                         // 0000000095D0: D0480022 00027B3D
	v_add3_u32 v30, v61, v33, 1                                // 0000000095D8: D1FF001E 0206433D
	v_cndmask_b32_e64 v35, v30, v32, s[34:35]                  // 0000000095E0: D1000023 008A411E
	v_perm_b32 v59, v35, v34, s52                              // 0000000095E8: D1ED003B 00D24523
	ds_write_b64 v43, v[58:59] offset:3120                     // 0000000095F0: D89A0C30 00003A2B
	v_mov_b32_e32 v58, v141                                    // 0000000095F8: 7E74038D
	v_mov_b32_e32 v59, v145                                    // 0000000095FC: 7E760391
	v_mov_b32_e32 v60, v149                                    // 000000009600: 7E780395
	v_mov_b32_e32 v61, v153                                    // 000000009604: 7E7A0399
	v_mul_f32_e32 v58, s43, v58                                // 000000009608: 0A74742B
	v_mul_f32_e32 v59, s43, v59                                // 00000000960C: 0A76762B
	v_mul_f32_e32 v60, s43, v60                                // 000000009610: 0A78782B
	v_mul_f32_e32 v61, s43, v61                                // 000000009614: 0A7A7A2B
	v_cmp_u_f32_e64 s[34:35], v58, v58                         // 000000009618: D0480022 0002753A
	v_add3_u32 v30, v58, v33, 1                                // 000000009620: D1FF001E 0206433A
	v_cndmask_b32_e64 v34, v30, v32, s[34:35]                  // 000000009628: D1000022 008A411E
	v_cmp_u_f32_e64 s[34:35], v59, v59                         // 000000009630: D0480022 0002773B
	v_add3_u32 v30, v59, v33, 1                                // 000000009638: D1FF001E 0206433B
	v_cndmask_b32_e64 v35, v30, v32, s[34:35]                  // 000000009640: D1000023 008A411E
	v_perm_b32 v58, v35, v34, s52                              // 000000009648: D1ED003A 00D24523
	v_cmp_u_f32_e64 s[34:35], v60, v60                         // 000000009650: D0480022 0002793C
	v_add3_u32 v30, v60, v33, 1                                // 000000009658: D1FF001E 0206433C
	v_cndmask_b32_e64 v34, v30, v32, s[34:35]                  // 000000009660: D1000022 008A411E
	v_cmp_u_f32_e64 s[34:35], v61, v61                         // 000000009668: D0480022 00027B3D
	v_add3_u32 v30, v61, v33, 1                                // 000000009670: D1FF001E 0206433D
	v_cndmask_b32_e64 v35, v30, v32, s[34:35]                  // 000000009678: D1000023 008A411E
	v_perm_b32 v59, v35, v34, s52                              // 000000009680: D1ED003B 00D24523
	ds_write_b64 v43, v[58:59] offset:3640                     // 000000009688: D89A0E38 00003A2B
	v_mov_b32_e32 v34, 0                                       // 000000009690: 7E440280
	v_mov_b32_e32 v35, 4                                       // 000000009694: 7E460284
	s_mov_b32 s56, 0xffff0000                                  // 000000009698: BEB800FF FFFF0000
	s_mov_b32 s57, 0xffff0000                                  // 0000000096A0: BEB900FF FFFF0000
	v_cndmask_b32_e64 v36, v34, v35, s[56:57]                  // 0000000096A8: D1000024 00E24722
	v_and_b32_e32 v34, 3, v0                                   // 0000000096B0: 26440083
	v_add_u32_e32 v34, v34, v36                                // 0000000096B4: 68444922
	s_mov_b32 s56, 0x82                                        // 0000000096B8: BEB800FF 00000082
	v_mul_i32_i24_e32 v34, s56, v34                            // 0000000096C0: 0C444438
	v_and_b32_e32 v35, 15, v0                                  // 0000000096C4: 2646008F
	v_lshrrev_b32_e32 v35, 2, v35                              // 0000000096C8: 20464682
	s_mov_b32 s56, 32                                          // 0000000096CC: BEB800A0
	v_mul_i32_i24_e32 v35, s56, v35                            // 0000000096D0: 0C464638
	v_lshrrev_b32_e32 v36, 5, v0                               // 0000000096D4: 20480085
	v_lshlrev_b32_e32 v36, 1, v36                              // 0000000096D8: 24484881
	v_add_u32_e32 v43, v34, v35                                // 0000000096DC: 68564722
	v_add_u32_e32 v43, v43, v36                                // 0000000096E0: 6856492B
	s_mul_i32 s56, s7, 0x410                                   // 0000000096E4: 9238FF07 00000410
	v_add_u32_e32 v43, s56, v43                                // 0000000096EC: 68565638
	v_lshlrev_b32_e32 v43, 2, v43                              // 0000000096F0: 24565682
	s_waitcnt lgkmcnt(0)                                       // 0000000096F4: BF8CC07F
	ds_read_b64 v[122:123], v43                                // 0000000096F8: D8EC0000 7A00002B
	ds_read_b64 v[124:125], v43 offset:16                      // 000000009700: D8EC0010 7C00002B
	ds_read_b64 v[126:127], v43 offset:32                      // 000000009708: D8EC0020 7E00002B
	ds_read_b64 v[128:129], v43 offset:48                      // 000000009710: D8EC0030 8000002B
	ds_read_b64 v[130:131], v43 offset:64                      // 000000009718: D8EC0040 8200002B
	ds_read_b64 v[132:133], v43 offset:80                      // 000000009720: D8EC0050 8400002B
	ds_read_b64 v[134:135], v43 offset:96                      // 000000009728: D8EC0060 8600002B
	ds_read_b64 v[136:137], v43 offset:112                     // 000000009730: D8EC0070 8800002B
	v_mov_b32_e32 v19, v51                                     // 000000009738: 7E260333
	s_waitcnt lgkmcnt(7)                                       // 00000000973C: BF8CC77F
	buffer_store_dwordx2 v[122:123], v19, s[88:91], 0 offen    // 000000009740: E0741000 80167A13
	v_add_u32_e32 v19, 0x800, v19                              // 000000009748: 682626FF 00000800
	s_waitcnt lgkmcnt(6)                                       // 000000009750: BF8CC67F
	buffer_store_dwordx2 v[124:125], v19, s[88:91], 0 offen    // 000000009754: E0741000 80167C13
	v_add_u32_e32 v19, 0x800, v19                              // 00000000975C: 682626FF 00000800
	s_waitcnt lgkmcnt(5)                                       // 000000009764: BF8CC57F
	buffer_store_dwordx2 v[126:127], v19, s[88:91], 0 offen    // 000000009768: E0741000 80167E13
	v_add_u32_e32 v19, 0x800, v19                              // 000000009770: 682626FF 00000800
	s_waitcnt lgkmcnt(4)                                       // 000000009778: BF8CC47F
	buffer_store_dwordx2 v[128:129], v19, s[88:91], 0 offen    // 00000000977C: E0741000 80168013
	v_add_u32_e32 v19, 0x800, v19                              // 000000009784: 682626FF 00000800
	s_waitcnt lgkmcnt(3)                                       // 00000000978C: BF8CC37F
	buffer_store_dwordx2 v[130:131], v19, s[88:91], 0 offen    // 000000009790: E0741000 80168213
	v_add_u32_e32 v19, 0x800, v19                              // 000000009798: 682626FF 00000800
	s_waitcnt lgkmcnt(2)                                       // 0000000097A0: BF8CC27F
	buffer_store_dwordx2 v[132:133], v19, s[88:91], 0 offen    // 0000000097A4: E0741000 80168413
	v_add_u32_e32 v19, 0x800, v19                              // 0000000097AC: 682626FF 00000800
	s_waitcnt lgkmcnt(1)                                       // 0000000097B4: BF8CC17F
	buffer_store_dwordx2 v[134:135], v19, s[88:91], 0 offen    // 0000000097B8: E0741000 80168613
	v_add_u32_e32 v19, 0x800, v19                              // 0000000097C0: 682626FF 00000800
	s_waitcnt lgkmcnt(0)                                       // 0000000097C8: BF8CC07F
	buffer_store_dwordx2 v[136:137], v19, s[88:91], 0 offen    // 0000000097CC: E0741000 80168813
	v_add_u32_e32 v19, 0x800, v19                              // 0000000097D4: 682626FF 00000800
	s_branch label_1F4C                                        // 0000000097DC: BF8201D1

00000000000097e0 <label_1D7B>:
	s_waitcnt lgkmcnt(0)                                       // 0000000097E0: BF8CC07F
	s_barrier                                                  // 0000000097E4: BF8A0000
	v_lshlrev_b32_e32 v43, 2, v0                               // 0000000097E8: 24560082
	s_mul_i32 s56, s7, 0x820                                   // 0000000097EC: 9238FF07 00000820
	v_add_u32_e32 v43, s56, v43                                // 0000000097F4: 68565638
	v_lshlrev_b32_e32 v43, 2, v43                              // 0000000097F8: 24565682
	v_mov_b32_e32 v34, v90                                     // 0000000097FC: 7E44035A
	v_mov_b32_e32 v35, v94                                     // 000000009800: 7E46035E
	v_mov_b32_e32 v36, v98                                     // 000000009804: 7E480362
	v_mov_b32_e32 v37, v102                                    // 000000009808: 7E4A0366
	v_mul_f32_e32 v34, s43, v34                                // 00000000980C: 0A44442B
	v_mul_f32_e32 v35, s43, v35                                // 000000009810: 0A46462B
	v_mul_f32_e32 v36, s43, v36                                // 000000009814: 0A48482B
	v_mul_f32_e32 v37, s43, v37                                // 000000009818: 0A4A4A2B
	ds_write_b128 v43, v[34:37]                                // 00000000981C: D9BE0000 0000222B
	v_mov_b32_e32 v34, v91                                     // 000000009824: 7E44035B
	v_mov_b32_e32 v35, v95                                     // 000000009828: 7E46035F
	v_mov_b32_e32 v36, v99                                     // 00000000982C: 7E480363
	v_mov_b32_e32 v37, v103                                    // 000000009830: 7E4A0367
	v_mul_f32_e32 v34, s43, v34                                // 000000009834: 0A44442B
	v_mul_f32_e32 v35, s43, v35                                // 000000009838: 0A46462B
	v_mul_f32_e32 v36, s43, v36                                // 00000000983C: 0A48482B
	v_mul_f32_e32 v37, s43, v37                                // 000000009840: 0A4A4A2B
	ds_write_b128 v43, v[34:37] offset:1040                    // 000000009844: D9BE0410 0000222B
	v_mov_b32_e32 v34, v92                                     // 00000000984C: 7E44035C
	v_mov_b32_e32 v35, v96                                     // 000000009850: 7E460360
	v_mov_b32_e32 v36, v100                                    // 000000009854: 7E480364
	v_mov_b32_e32 v37, v104                                    // 000000009858: 7E4A0368
	v_mul_f32_e32 v34, s43, v34                                // 00000000985C: 0A44442B
	v_mul_f32_e32 v35, s43, v35                                // 000000009860: 0A46462B
	v_mul_f32_e32 v36, s43, v36                                // 000000009864: 0A48482B
	v_mul_f32_e32 v37, s43, v37                                // 000000009868: 0A4A4A2B
	ds_write_b128 v43, v[34:37] offset:2080                    // 00000000986C: D9BE0820 0000222B
	v_mov_b32_e32 v34, v93                                     // 000000009874: 7E44035D
	v_mov_b32_e32 v35, v97                                     // 000000009878: 7E460361
	v_mov_b32_e32 v36, v101                                    // 00000000987C: 7E480365
	v_mov_b32_e32 v37, v105                                    // 000000009880: 7E4A0369
	v_mul_f32_e32 v34, s43, v34                                // 000000009884: 0A44442B
	v_mul_f32_e32 v35, s43, v35                                // 000000009888: 0A46462B
	v_mul_f32_e32 v36, s43, v36                                // 00000000988C: 0A48482B
	v_mul_f32_e32 v37, s43, v37                                // 000000009890: 0A4A4A2B
	ds_write_b128 v43, v[34:37] offset:3120                    // 000000009894: D9BE0C30 0000222B
	v_mov_b32_e32 v34, v106                                    // 00000000989C: 7E44036A
	v_mov_b32_e32 v35, v110                                    // 0000000098A0: 7E46036E
	v_mov_b32_e32 v36, v114                                    // 0000000098A4: 7E480372
	v_mov_b32_e32 v37, v118                                    // 0000000098A8: 7E4A0376
	v_mul_f32_e32 v34, s43, v34                                // 0000000098AC: 0A44442B
	v_mul_f32_e32 v35, s43, v35                                // 0000000098B0: 0A46462B
	v_mul_f32_e32 v36, s43, v36                                // 0000000098B4: 0A48482B
	v_mul_f32_e32 v37, s43, v37                                // 0000000098B8: 0A4A4A2B
	ds_write_b128 v43, v[34:37] offset:4160                    // 0000000098BC: D9BE1040 0000222B
	v_mov_b32_e32 v34, v107                                    // 0000000098C4: 7E44036B
	v_mov_b32_e32 v35, v111                                    // 0000000098C8: 7E46036F
	v_mov_b32_e32 v36, v115                                    // 0000000098CC: 7E480373
	v_mov_b32_e32 v37, v119                                    // 0000000098D0: 7E4A0377
	v_mul_f32_e32 v34, s43, v34                                // 0000000098D4: 0A44442B
	v_mul_f32_e32 v35, s43, v35                                // 0000000098D8: 0A46462B
	v_mul_f32_e32 v36, s43, v36                                // 0000000098DC: 0A48482B
	v_mul_f32_e32 v37, s43, v37                                // 0000000098E0: 0A4A4A2B
	ds_write_b128 v43, v[34:37] offset:5200                    // 0000000098E4: D9BE1450 0000222B
	v_mov_b32_e32 v34, v108                                    // 0000000098EC: 7E44036C
	v_mov_b32_e32 v35, v112                                    // 0000000098F0: 7E460370
	v_mov_b32_e32 v36, v116                                    // 0000000098F4: 7E480374
	v_mov_b32_e32 v37, v120                                    // 0000000098F8: 7E4A0378
	v_mul_f32_e32 v34, s43, v34                                // 0000000098FC: 0A44442B
	v_mul_f32_e32 v35, s43, v35                                // 000000009900: 0A46462B
	v_mul_f32_e32 v36, s43, v36                                // 000000009904: 0A48482B
	v_mul_f32_e32 v37, s43, v37                                // 000000009908: 0A4A4A2B
	ds_write_b128 v43, v[34:37] offset:6240                    // 00000000990C: D9BE1860 0000222B
	v_mov_b32_e32 v34, v109                                    // 000000009914: 7E44036D
	v_mov_b32_e32 v35, v113                                    // 000000009918: 7E460371
	v_mov_b32_e32 v36, v117                                    // 00000000991C: 7E480375
	v_mov_b32_e32 v37, v121                                    // 000000009920: 7E4A0379
	v_mul_f32_e32 v34, s43, v34                                // 000000009924: 0A44442B
	v_mul_f32_e32 v35, s43, v35                                // 000000009928: 0A46462B
	v_mul_f32_e32 v36, s43, v36                                // 00000000992C: 0A48482B
	v_mul_f32_e32 v37, s43, v37                                // 000000009930: 0A4A4A2B
	ds_write_b128 v43, v[34:37] offset:7280                    // 000000009934: D9BE1C70 0000222B
	v_mov_b32_e32 v34, 0                                       // 00000000993C: 7E440280
	v_mov_b32_e32 v35, 4                                       // 000000009940: 7E460284
	s_mov_b32 s56, 0xffff0000                                  // 000000009944: BEB800FF FFFF0000
	s_mov_b32 s57, 0xffff0000                                  // 00000000994C: BEB900FF FFFF0000
	v_cndmask_b32_e64 v36, v34, v35, s[56:57]                  // 000000009954: D1000024 00E24722
	v_and_b32_e32 v34, 3, v0                                   // 00000000995C: 26440083
	v_add_u32_e32 v34, v34, v36                                // 000000009960: 68444922
	s_mov_b32 s56, 0x104                                       // 000000009964: BEB800FF 00000104
	v_mul_i32_i24_e32 v34, s56, v34                            // 00000000996C: 0C444438
	v_and_b32_e32 v35, 15, v0                                  // 000000009970: 2646008F
	v_lshrrev_b32_e32 v35, 2, v35                              // 000000009974: 20464682
	s_mov_b32 s56, 64                                          // 000000009978: BEB800C0
	v_mul_i32_i24_e32 v35, s56, v35                            // 00000000997C: 0C464638
	v_lshrrev_b32_e32 v36, 5, v0                               // 000000009980: 20480085
	v_lshlrev_b32_e32 v36, 2, v36                              // 000000009984: 24484882
	v_add_u32_e32 v43, v34, v35                                // 000000009988: 68564722
	v_add_u32_e32 v43, v43, v36                                // 00000000998C: 6856492B
	s_mul_i32 s56, s7, 0x820                                   // 000000009990: 9238FF07 00000820
	v_add_u32_e32 v43, s56, v43                                // 000000009998: 68565638
	v_lshlrev_b32_e32 v43, 2, v43                              // 00000000999C: 24565682
	s_waitcnt lgkmcnt(0)                                       // 0000000099A0: BF8CC07F
	ds_read_b128 v[90:93], v43                                 // 0000000099A4: D9FE0000 5A00002B
	ds_read_b128 v[94:97], v43 offset:32                       // 0000000099AC: D9FE0020 5E00002B
	ds_read_b128 v[98:101], v43 offset:64                      // 0000000099B4: D9FE0040 6200002B
	ds_read_b128 v[102:105], v43 offset:96                     // 0000000099BC: D9FE0060 6600002B
	ds_read_b128 v[106:109], v43 offset:128                    // 0000000099C4: D9FE0080 6A00002B
	ds_read_b128 v[110:113], v43 offset:160                    // 0000000099CC: D9FE00A0 6E00002B
	ds_read_b128 v[114:117], v43 offset:192                    // 0000000099D4: D9FE00C0 7200002B
	ds_read_b128 v[118:121], v43 offset:224                    // 0000000099DC: D9FE00E0 7600002B
	s_mul_i32 s75, 0x800, 16                                   // 0000000099E4: 924B90FF 00000800
	s_mul_i32 s56, s87, s75                                    // 0000000099EC: 92384B57
	s_add_u32 s8, s56, s8                                      // 0000000099F0: 80080838
	s_addc_u32 s9, 0, s9                                       // 0000000099F4: 82090980
	s_mul_i32 s56, s81, s75                                    // 0000000099F8: 92384B51
	s_mov_b32 s10, s56                                         // 0000000099FC: BE8A0038
	s_mul_i32 s56, s7, 0x200                                   // 000000009A00: 9238FF07 00000200
	v_lshrrev_b32_e32 v34, 5, v0                               // 000000009A08: 20440085
	s_mov_b32 s57, 0x800                                       // 000000009A0C: BEB900FF 00000800
	v_mul_i32_i24_e32 v34, s57, v34                            // 000000009A14: 0C444439
	v_and_b32_e32 v19, 31, v0                                  // 000000009A18: 2626009F
	v_lshlrev_b32_e32 v19, 4, v19                              // 000000009A1C: 24262684
	v_add_u32_e32 v19, v19, v34                                // 000000009A20: 68264513
	v_add_u32_e64 v19, v19, s56                                // 000000009A24: D1340013 00007113
	v_mov_b32_e32 v51, v19                                     // 000000009A2C: 7E660313
	v_mov_b32_e32 v19, v51                                     // 000000009A30: 7E260333
	s_waitcnt lgkmcnt(7)                                       // 000000009A34: BF8CC77F
	buffer_store_dwordx4 v[90:93], v19, s[8:11], 0 offen       // 000000009A38: E07C1000 80025A13
	v_add_u32_e32 v19, 0x1000, v19                             // 000000009A40: 682626FF 00001000
	s_waitcnt lgkmcnt(6)                                       // 000000009A48: BF8CC67F
	buffer_store_dwordx4 v[94:97], v19, s[8:11], 0 offen       // 000000009A4C: E07C1000 80025E13
	v_add_u32_e32 v19, 0x1000, v19                             // 000000009A54: 682626FF 00001000
	s_waitcnt lgkmcnt(5)                                       // 000000009A5C: BF8CC57F
	buffer_store_dwordx4 v[98:101], v19, s[8:11], 0 offen      // 000000009A60: E07C1000 80026213
	v_add_u32_e32 v19, 0x1000, v19                             // 000000009A68: 682626FF 00001000
	s_waitcnt lgkmcnt(4)                                       // 000000009A70: BF8CC47F
	buffer_store_dwordx4 v[102:105], v19, s[8:11], 0 offen     // 000000009A74: E07C1000 80026613
	v_add_u32_e32 v19, 0x1000, v19                             // 000000009A7C: 682626FF 00001000
	s_waitcnt lgkmcnt(3)                                       // 000000009A84: BF8CC37F
	buffer_store_dwordx4 v[106:109], v19, s[8:11], 0 offen     // 000000009A88: E07C1000 80026A13
	v_add_u32_e32 v19, 0x1000, v19                             // 000000009A90: 682626FF 00001000
	s_waitcnt lgkmcnt(2)                                       // 000000009A98: BF8CC27F
	buffer_store_dwordx4 v[110:113], v19, s[8:11], 0 offen     // 000000009A9C: E07C1000 80026E13
	v_add_u32_e32 v19, 0x1000, v19                             // 000000009AA4: 682626FF 00001000
	s_waitcnt lgkmcnt(1)                                       // 000000009AAC: BF8CC17F
	buffer_store_dwordx4 v[114:117], v19, s[8:11], 0 offen     // 000000009AB0: E07C1000 80027213
	v_add_u32_e32 v19, 0x1000, v19                             // 000000009AB8: 682626FF 00001000
	s_waitcnt lgkmcnt(0)                                       // 000000009AC0: BF8CC07F
	buffer_store_dwordx4 v[118:121], v19, s[8:11], 0 offen     // 000000009AC4: E07C1000 80027613
	v_add_u32_e32 v19, 0x1000, v19                             // 000000009ACC: 682626FF 00001000
	s_mov_b32 s56, s75                                         // 000000009AD4: BEB8004B
	s_add_u32 s8, s56, s8                                      // 000000009AD8: 80080838
	s_addc_u32 s9, 0, s9                                       // 000000009ADC: 82090980
	v_mov_b32_e32 v34, v44                                     // 000000009AE0: 7E44032C
	buffer_store_dword v44, v18, s[12:15], 0 offen             // 000000009AE4: E0701000 80032C12
	ds_write_b32 v5, v16 offset:21120                          // 000000009AEC: D81A5280 00001005
	s_waitcnt lgkmcnt(0)                                       // 000000009AF4: BF8CC07F
	s_barrier                                                  // 000000009AF8: BF8A0000
	ds_read_b32 v58, v4 offset:21120                           // 000000009AFC: D86C5280 3A000004
	ds_read_b32 v59, v4 offset:21184                           // 000000009B04: D86C52C0 3B000004
	ds_read_b32 v60, v4 offset:21248                           // 000000009B0C: D86C5300 3C000004
	ds_read_b32 v61, v4 offset:21312                           // 000000009B14: D86C5340 3D000004
	ds_read_b32 v62, v4 offset:21376                           // 000000009B1C: D86C5380 3E000004
	ds_read_b32 v63, v4 offset:21440                           // 000000009B24: D86C53C0 3F000004
	ds_read_b32 v64, v4 offset:21504                           // 000000009B2C: D86C5400 40000004
	ds_read_b32 v65, v4 offset:21568                           // 000000009B34: D86C5440 41000004
	ds_read_b32 v66, v4 offset:21632                           // 000000009B3C: D86C5480 42000004
	ds_read_b32 v67, v4 offset:21696                           // 000000009B44: D86C54C0 43000004
	ds_read_b32 v68, v4 offset:21760                           // 000000009B4C: D86C5500 44000004
	ds_read_b32 v69, v4 offset:21824                           // 000000009B54: D86C5540 45000004
	ds_read_b32 v70, v4 offset:21888                           // 000000009B5C: D86C5580 46000004
	ds_read_b32 v71, v4 offset:21952                           // 000000009B64: D86C55C0 47000004
	ds_read_b32 v72, v4 offset:22016                           // 000000009B6C: D86C5600 48000004
	ds_read_b32 v73, v4 offset:22080                           // 000000009B74: D86C5640 49000004
	s_waitcnt lgkmcnt(0)                                       // 000000009B7C: BF8CC07F
	v_mov_b32_e32 v16, 0                                       // 000000009B80: 7E200280
	v_add_f32_e32 v16, v58, v16                                // 000000009B84: 0220213A
	v_add_f32_e32 v16, v59, v16                                // 000000009B88: 0220213B
	v_add_f32_e32 v16, v60, v16                                // 000000009B8C: 0220213C
	v_add_f32_e32 v16, v61, v16                                // 000000009B90: 0220213D
	v_add_f32_e32 v16, v62, v16                                // 000000009B94: 0220213E
	v_add_f32_e32 v16, v63, v16                                // 000000009B98: 0220213F
	v_add_f32_e32 v16, v64, v16                                // 000000009B9C: 02202140
	v_add_f32_e32 v16, v65, v16                                // 000000009BA0: 02202141
	v_add_f32_e32 v16, v66, v16                                // 000000009BA4: 02202142
	v_add_f32_e32 v16, v67, v16                                // 000000009BA8: 02202143
	v_add_f32_e32 v16, v68, v16                                // 000000009BAC: 02202144
	v_add_f32_e32 v16, v69, v16                                // 000000009BB0: 02202145
	v_add_f32_e32 v16, v70, v16                                // 000000009BB4: 02202146
	v_add_f32_e32 v16, v71, v16                                // 000000009BB8: 02202147
	v_add_f32_e32 v16, v72, v16                                // 000000009BBC: 02202148
	v_add_f32_e32 v16, v73, v16                                // 000000009BC0: 02202149
	v_mul_f32_e64 v34, v13, s64                                // 000000009BC4: D1050022 0000810D
	v_log_f32_e32 v35, v16                                     // 000000009BCC: 7E464310
	s_nop 1                                                    // 000000009BD0: BF800001
	v_rcp_f32_e32 v16, v16                                     // 000000009BD4: 7E204510
	s_nop 1                                                    // 000000009BD8: BF800001
	v_fma_f32 v45, v35, s63, v34                               // 000000009BDC: D1CB002D 04887F23
	v_mul_f32_e32 v122, v16, v122                              // 000000009BE4: 0AF4F510
	v_mul_f32_e32 v123, v16, v123                              // 000000009BE8: 0AF6F710
	v_mul_f32_e32 v124, v16, v124                              // 000000009BEC: 0AF8F910
	v_mul_f32_e32 v125, v16, v125                              // 000000009BF0: 0AFAFB10
	v_mul_f32_e32 v126, v16, v126                              // 000000009BF4: 0AFCFD10
	v_mul_f32_e32 v127, v16, v127                              // 000000009BF8: 0AFEFF10
	v_mul_f32_e32 v128, v16, v128                              // 000000009BFC: 0B010110
	v_mul_f32_e32 v129, v16, v129                              // 000000009C00: 0B030310
	v_mul_f32_e32 v130, v16, v130                              // 000000009C04: 0B050510
	v_mul_f32_e32 v131, v16, v131                              // 000000009C08: 0B070710
	v_mul_f32_e32 v132, v16, v132                              // 000000009C0C: 0B090910
	v_mul_f32_e32 v133, v16, v133                              // 000000009C10: 0B0B0B10
	v_mul_f32_e32 v134, v16, v134                              // 000000009C14: 0B0D0D10
	v_mul_f32_e32 v135, v16, v135                              // 000000009C18: 0B0F0F10
	v_mul_f32_e32 v136, v16, v136                              // 000000009C1C: 0B111110
	v_mul_f32_e32 v137, v16, v137                              // 000000009C20: 0B131310
	v_mul_f32_e32 v138, v16, v138                              // 000000009C24: 0B151510
	v_mul_f32_e32 v139, v16, v139                              // 000000009C28: 0B171710
	v_mul_f32_e32 v140, v16, v140                              // 000000009C2C: 0B191910
	v_mul_f32_e32 v141, v16, v141                              // 000000009C30: 0B1B1B10
	v_mul_f32_e32 v142, v16, v142                              // 000000009C34: 0B1D1D10
	v_mul_f32_e32 v143, v16, v143                              // 000000009C38: 0B1F1F10
	v_mul_f32_e32 v144, v16, v144                              // 000000009C3C: 0B212110
	v_mul_f32_e32 v145, v16, v145                              // 000000009C40: 0B232310
	v_mul_f32_e32 v146, v16, v146                              // 000000009C44: 0B252510
	v_mul_f32_e32 v147, v16, v147                              // 000000009C48: 0B272710
	v_mul_f32_e32 v148, v16, v148                              // 000000009C4C: 0B292910
	v_mul_f32_e32 v149, v16, v149                              // 000000009C50: 0B2B2B10
	v_mul_f32_e32 v150, v16, v150                              // 000000009C54: 0B2D2D10
	v_mul_f32_e32 v151, v16, v151                              // 000000009C58: 0B2F2F10
	v_mul_f32_e32 v152, v16, v152                              // 000000009C5C: 0B313110
	v_mul_f32_e32 v153, v16, v153                              // 000000009C60: 0B333310
	s_waitcnt lgkmcnt(0)                                       // 000000009C64: BF8CC07F
	s_barrier                                                  // 000000009C68: BF8A0000
	v_lshlrev_b32_e32 v43, 2, v0                               // 000000009C6C: 24560082
	s_mul_i32 s56, s7, 0x820                                   // 000000009C70: 9238FF07 00000820
	v_add_u32_e32 v43, s56, v43                                // 000000009C78: 68565638
	v_lshlrev_b32_e32 v43, 2, v43                              // 000000009C7C: 24565682
	v_mov_b32_e32 v34, v122                                    // 000000009C80: 7E44037A
	v_mov_b32_e32 v35, v126                                    // 000000009C84: 7E46037E
	v_mov_b32_e32 v36, v130                                    // 000000009C88: 7E480382
	v_mov_b32_e32 v37, v134                                    // 000000009C8C: 7E4A0386
	v_mul_f32_e32 v34, s43, v34                                // 000000009C90: 0A44442B
	v_mul_f32_e32 v35, s43, v35                                // 000000009C94: 0A46462B
	v_mul_f32_e32 v36, s43, v36                                // 000000009C98: 0A48482B
	v_mul_f32_e32 v37, s43, v37                                // 000000009C9C: 0A4A4A2B
	ds_write_b128 v43, v[34:37]                                // 000000009CA0: D9BE0000 0000222B
	v_mov_b32_e32 v34, v123                                    // 000000009CA8: 7E44037B
	v_mov_b32_e32 v35, v127                                    // 000000009CAC: 7E46037F
	v_mov_b32_e32 v36, v131                                    // 000000009CB0: 7E480383
	v_mov_b32_e32 v37, v135                                    // 000000009CB4: 7E4A0387
	v_mul_f32_e32 v34, s43, v34                                // 000000009CB8: 0A44442B
	v_mul_f32_e32 v35, s43, v35                                // 000000009CBC: 0A46462B
	v_mul_f32_e32 v36, s43, v36                                // 000000009CC0: 0A48482B
	v_mul_f32_e32 v37, s43, v37                                // 000000009CC4: 0A4A4A2B
	ds_write_b128 v43, v[34:37] offset:1040                    // 000000009CC8: D9BE0410 0000222B
	v_mov_b32_e32 v34, v124                                    // 000000009CD0: 7E44037C
	v_mov_b32_e32 v35, v128                                    // 000000009CD4: 7E460380
	v_mov_b32_e32 v36, v132                                    // 000000009CD8: 7E480384
	v_mov_b32_e32 v37, v136                                    // 000000009CDC: 7E4A0388
	v_mul_f32_e32 v34, s43, v34                                // 000000009CE0: 0A44442B
	v_mul_f32_e32 v35, s43, v35                                // 000000009CE4: 0A46462B
	v_mul_f32_e32 v36, s43, v36                                // 000000009CE8: 0A48482B
	v_mul_f32_e32 v37, s43, v37                                // 000000009CEC: 0A4A4A2B
	ds_write_b128 v43, v[34:37] offset:2080                    // 000000009CF0: D9BE0820 0000222B
	v_mov_b32_e32 v34, v125                                    // 000000009CF8: 7E44037D
	v_mov_b32_e32 v35, v129                                    // 000000009CFC: 7E460381
	v_mov_b32_e32 v36, v133                                    // 000000009D00: 7E480385
	v_mov_b32_e32 v37, v137                                    // 000000009D04: 7E4A0389
	v_mul_f32_e32 v34, s43, v34                                // 000000009D08: 0A44442B
	v_mul_f32_e32 v35, s43, v35                                // 000000009D0C: 0A46462B
	v_mul_f32_e32 v36, s43, v36                                // 000000009D10: 0A48482B
	v_mul_f32_e32 v37, s43, v37                                // 000000009D14: 0A4A4A2B
	ds_write_b128 v43, v[34:37] offset:3120                    // 000000009D18: D9BE0C30 0000222B
	v_mov_b32_e32 v34, v138                                    // 000000009D20: 7E44038A
	v_mov_b32_e32 v35, v142                                    // 000000009D24: 7E46038E
	v_mov_b32_e32 v36, v146                                    // 000000009D28: 7E480392
	v_mov_b32_e32 v37, v150                                    // 000000009D2C: 7E4A0396
	v_mul_f32_e32 v34, s43, v34                                // 000000009D30: 0A44442B
	v_mul_f32_e32 v35, s43, v35                                // 000000009D34: 0A46462B
	v_mul_f32_e32 v36, s43, v36                                // 000000009D38: 0A48482B
	v_mul_f32_e32 v37, s43, v37                                // 000000009D3C: 0A4A4A2B
	ds_write_b128 v43, v[34:37] offset:4160                    // 000000009D40: D9BE1040 0000222B
	v_mov_b32_e32 v34, v139                                    // 000000009D48: 7E44038B
	v_mov_b32_e32 v35, v143                                    // 000000009D4C: 7E46038F
	v_mov_b32_e32 v36, v147                                    // 000000009D50: 7E480393
	v_mov_b32_e32 v37, v151                                    // 000000009D54: 7E4A0397
	v_mul_f32_e32 v34, s43, v34                                // 000000009D58: 0A44442B
	v_mul_f32_e32 v35, s43, v35                                // 000000009D5C: 0A46462B
	v_mul_f32_e32 v36, s43, v36                                // 000000009D60: 0A48482B
	v_mul_f32_e32 v37, s43, v37                                // 000000009D64: 0A4A4A2B
	ds_write_b128 v43, v[34:37] offset:5200                    // 000000009D68: D9BE1450 0000222B
	v_mov_b32_e32 v34, v140                                    // 000000009D70: 7E44038C
	v_mov_b32_e32 v35, v144                                    // 000000009D74: 7E460390
	v_mov_b32_e32 v36, v148                                    // 000000009D78: 7E480394
	v_mov_b32_e32 v37, v152                                    // 000000009D7C: 7E4A0398
	v_mul_f32_e32 v34, s43, v34                                // 000000009D80: 0A44442B
	v_mul_f32_e32 v35, s43, v35                                // 000000009D84: 0A46462B
	v_mul_f32_e32 v36, s43, v36                                // 000000009D88: 0A48482B
	v_mul_f32_e32 v37, s43, v37                                // 000000009D8C: 0A4A4A2B
	ds_write_b128 v43, v[34:37] offset:6240                    // 000000009D90: D9BE1860 0000222B
	v_mov_b32_e32 v34, v141                                    // 000000009D98: 7E44038D
	v_mov_b32_e32 v35, v145                                    // 000000009D9C: 7E460391
	v_mov_b32_e32 v36, v149                                    // 000000009DA0: 7E480395
	v_mov_b32_e32 v37, v153                                    // 000000009DA4: 7E4A0399
	v_mul_f32_e32 v34, s43, v34                                // 000000009DA8: 0A44442B
	v_mul_f32_e32 v35, s43, v35                                // 000000009DAC: 0A46462B
	v_mul_f32_e32 v36, s43, v36                                // 000000009DB0: 0A48482B
	v_mul_f32_e32 v37, s43, v37                                // 000000009DB4: 0A4A4A2B
	ds_write_b128 v43, v[34:37] offset:7280                    // 000000009DB8: D9BE1C70 0000222B
	v_mov_b32_e32 v34, 0                                       // 000000009DC0: 7E440280
	v_mov_b32_e32 v35, 4                                       // 000000009DC4: 7E460284
	s_mov_b32 s56, 0xffff0000                                  // 000000009DC8: BEB800FF FFFF0000
	s_mov_b32 s57, 0xffff0000                                  // 000000009DD0: BEB900FF FFFF0000
	v_cndmask_b32_e64 v36, v34, v35, s[56:57]                  // 000000009DD8: D1000024 00E24722
	v_and_b32_e32 v34, 3, v0                                   // 000000009DE0: 26440083
	v_add_u32_e32 v34, v34, v36                                // 000000009DE4: 68444922
	s_mov_b32 s56, 0x104                                       // 000000009DE8: BEB800FF 00000104
	v_mul_i32_i24_e32 v34, s56, v34                            // 000000009DF0: 0C444438
	v_and_b32_e32 v35, 15, v0                                  // 000000009DF4: 2646008F
	v_lshrrev_b32_e32 v35, 2, v35                              // 000000009DF8: 20464682
	s_mov_b32 s56, 64                                          // 000000009DFC: BEB800C0
	v_mul_i32_i24_e32 v35, s56, v35                            // 000000009E00: 0C464638
	v_lshrrev_b32_e32 v36, 5, v0                               // 000000009E04: 20480085
	v_lshlrev_b32_e32 v36, 2, v36                              // 000000009E08: 24484882
	v_add_u32_e32 v43, v34, v35                                // 000000009E0C: 68564722
	v_add_u32_e32 v43, v43, v36                                // 000000009E10: 6856492B
	s_mul_i32 s56, s7, 0x820                                   // 000000009E14: 9238FF07 00000820
	v_add_u32_e32 v43, s56, v43                                // 000000009E1C: 68565638
	v_lshlrev_b32_e32 v43, 2, v43                              // 000000009E20: 24565682
	s_waitcnt lgkmcnt(0)                                       // 000000009E24: BF8CC07F
	ds_read_b128 v[122:125], v43                               // 000000009E28: D9FE0000 7A00002B
	ds_read_b128 v[126:129], v43 offset:32                     // 000000009E30: D9FE0020 7E00002B
	ds_read_b128 v[130:133], v43 offset:64                     // 000000009E38: D9FE0040 8200002B
	ds_read_b128 v[134:137], v43 offset:96                     // 000000009E40: D9FE0060 8600002B
	ds_read_b128 v[138:141], v43 offset:128                    // 000000009E48: D9FE0080 8A00002B
	ds_read_b128 v[142:145], v43 offset:160                    // 000000009E50: D9FE00A0 8E00002B
	ds_read_b128 v[146:149], v43 offset:192                    // 000000009E58: D9FE00C0 9200002B
	ds_read_b128 v[150:153], v43 offset:224                    // 000000009E60: D9FE00E0 9600002B
	v_mov_b32_e32 v19, v51                                     // 000000009E68: 7E260333
	s_waitcnt lgkmcnt(7)                                       // 000000009E6C: BF8CC77F
	buffer_store_dwordx4 v[122:125], v19, s[8:11], 0 offen     // 000000009E70: E07C1000 80027A13
	v_add_u32_e32 v19, 0x1000, v19                             // 000000009E78: 682626FF 00001000
	s_waitcnt lgkmcnt(6)                                       // 000000009E80: BF8CC67F
	buffer_store_dwordx4 v[126:129], v19, s[8:11], 0 offen     // 000000009E84: E07C1000 80027E13
	v_add_u32_e32 v19, 0x1000, v19                             // 000000009E8C: 682626FF 00001000
	s_waitcnt lgkmcnt(5)                                       // 000000009E94: BF8CC57F
	buffer_store_dwordx4 v[130:133], v19, s[8:11], 0 offen     // 000000009E98: E07C1000 80028213
	v_add_u32_e32 v19, 0x1000, v19                             // 000000009EA0: 682626FF 00001000
	s_waitcnt lgkmcnt(4)                                       // 000000009EA8: BF8CC47F
	buffer_store_dwordx4 v[134:137], v19, s[8:11], 0 offen     // 000000009EAC: E07C1000 80028613
	v_add_u32_e32 v19, 0x1000, v19                             // 000000009EB4: 682626FF 00001000
	s_waitcnt lgkmcnt(3)                                       // 000000009EBC: BF8CC37F
	buffer_store_dwordx4 v[138:141], v19, s[8:11], 0 offen     // 000000009EC0: E07C1000 80028A13
	v_add_u32_e32 v19, 0x1000, v19                             // 000000009EC8: 682626FF 00001000
	s_waitcnt lgkmcnt(2)                                       // 000000009ED0: BF8CC27F
	buffer_store_dwordx4 v[142:145], v19, s[8:11], 0 offen     // 000000009ED4: E07C1000 80028E13
	v_add_u32_e32 v19, 0x1000, v19                             // 000000009EDC: 682626FF 00001000
	s_waitcnt lgkmcnt(1)                                       // 000000009EE4: BF8CC17F
	buffer_store_dwordx4 v[146:149], v19, s[8:11], 0 offen     // 000000009EE8: E07C1000 80029213
	v_add_u32_e32 v19, 0x1000, v19                             // 000000009EF0: 682626FF 00001000
	s_waitcnt lgkmcnt(0)                                       // 000000009EF8: BF8CC07F
	buffer_store_dwordx4 v[150:153], v19, s[8:11], 0 offen     // 000000009EFC: E07C1000 80029613
	v_add_u32_e32 v19, 0x1000, v19                             // 000000009F04: 682626FF 00001000
	s_mov_b32 s56, 64                                          // 000000009F0C: BEB800C0
	s_add_u32 s12, s56, s12                                    // 000000009F10: 800C0C38
	s_addc_u32 s13, 0, s13                                     // 000000009F14: 820D0D80
	v_mov_b32_e32 v34, v45                                     // 000000009F18: 7E44032D
	buffer_store_dword v45, v18, s[12:15], 0 offen             // 000000009F1C: E0701000 80032D12

0000000000009f24 <label_1F4C>:
	s_mov_b32 s56, 32                                          // 000000009F24: BEB800A0
	s_addk_i32 s85, 0x1                                        // 000000009F28: B7550001
	s_cmp_lt_i32 s85, s86                                      // 000000009F2C: BF045655
	s_cbranch_scc1 label_0029                                  // 000000009F30: BF85E11C

0000000000009f34 <label_1F50>:
	s_waitcnt vmcnt(0) expcnt(0) lgkmcnt(0)                    // 000000009F34: BF8C0000
	s_endpgm                                                   // 000000009F38: BF810000
